;; amdgpu-corpus repo=ROCm/rocFFT kind=compiled arch=gfx1201 opt=O3
	.text
	.amdgcn_target "amdgcn-amd-amdhsa--gfx1201"
	.amdhsa_code_object_version 6
	.protected	bluestein_single_back_len2197_dim1_dp_op_CI_CI ; -- Begin function bluestein_single_back_len2197_dim1_dp_op_CI_CI
	.globl	bluestein_single_back_len2197_dim1_dp_op_CI_CI
	.p2align	8
	.type	bluestein_single_back_len2197_dim1_dp_op_CI_CI,@function
bluestein_single_back_len2197_dim1_dp_op_CI_CI: ; @bluestein_single_back_len2197_dim1_dp_op_CI_CI
; %bb.0:
	s_load_b128 s[12:15], s[0:1], 0x28
	v_mul_u32_u24_e32 v1, 0x184, v0
	s_mov_b32 s2, exec_lo
	v_mov_b32_e32 v3, 0
	s_delay_alu instid0(VALU_DEP_2) | instskip(NEXT) | instid1(VALU_DEP_1)
	v_lshrrev_b32_e32 v1, 16, v1
	v_add_nc_u32_e32 v2, ttmp9, v1
	s_wait_kmcnt 0x0
	s_delay_alu instid0(VALU_DEP_1)
	v_cmpx_gt_u64_e64 s[12:13], v[2:3]
	s_cbranch_execz .LBB0_2
; %bb.1:
	s_clause 0x1
	s_load_b128 s[4:7], s[0:1], 0x18
	s_load_b128 s[8:11], s[0:1], 0x0
	v_mul_lo_u16 v1, 0xa9, v1
	v_mov_b32_e32 v4, v2
	s_mov_b32 s28, 0x4267c47c
	s_mov_b32 s26, 0x42a4c3d2
	;; [unrolled: 1-line block ×3, first 2 shown]
	v_sub_nc_u16 v28, v0, v1
	scratch_store_b64 off, v[4:5], off      ; 8-byte Folded Spill
	s_mov_b32 s29, 0xbfddbe06
	s_mov_b32 s27, 0xbfea55e2
	;; [unrolled: 1-line block ×3, first 2 shown]
	v_and_b32_e32 v34, 0xffff, v28
	s_mov_b32 s22, 0xe00740e9
	s_mov_b32 s20, 0x1ea71119
	;; [unrolled: 1-line block ×7, first 2 shown]
	s_wait_kmcnt 0x0
	s_load_b128 s[16:19], s[4:5], 0x0
	s_mov_b32 s13, 0x3fbedb7d
	s_mov_b32 s25, 0xbfe7f3cc
	;; [unrolled: 1-line block ×12, first 2 shown]
	s_load_b64 s[0:1], s[0:1], 0x38
	s_wait_kmcnt 0x0
	v_mad_co_u64_u32 v[0:1], null, s18, v2, 0
	v_mad_co_u64_u32 v[2:3], null, s16, v34, 0
	s_mul_u64 s[2:3], s[16:17], 0xa90
	s_delay_alu instid0(VALU_DEP_1) | instskip(SKIP_2) | instid1(VALU_DEP_1)
	v_mad_co_u64_u32 v[4:5], null, s19, v4, v[1:2]
	s_mov_b32 s18, 0xb2365da1
	s_mov_b32 s19, 0xbfd6b1d8
	v_mov_b32_e32 v1, v4
	s_delay_alu instid0(VALU_DEP_3) | instskip(SKIP_2) | instid1(VALU_DEP_3)
	v_mad_co_u64_u32 v[5:6], null, s17, v34, v[3:4]
	v_lshlrev_b32_e32 v35, 4, v34
	s_mov_b32 s16, 0x66966769
	v_lshlrev_b64_e32 v[0:1], 4, v[0:1]
	s_mov_b32 s17, 0xbfefc445
	s_wait_alu 0xfffe
	s_mov_b32 s36, s16
	s_delay_alu instid0(VALU_DEP_3) | instskip(NEXT) | instid1(VALU_DEP_2)
	v_mov_b32_e32 v3, v5
	v_add_co_u32 v0, vcc_lo, s14, v0
	v_add_co_ci_u32_e32 v1, vcc_lo, s15, v1, vcc_lo
	s_delay_alu instid0(VALU_DEP_3) | instskip(SKIP_4) | instid1(VALU_DEP_1)
	v_lshlrev_b64_e32 v[2:3], 4, v[2:3]
	s_mov_b32 s14, 0x24c2f84
	s_mov_b32 s15, 0xbfe5384d
	s_wait_alu 0xfffe
	s_mov_b32 s40, s14
	v_add_co_u32 v4, vcc_lo, v0, v2
	s_wait_alu 0xfffd
	v_add_co_ci_u32_e32 v5, vcc_lo, v1, v3, vcc_lo
	s_delay_alu instid0(VALU_DEP_2) | instskip(SKIP_1) | instid1(VALU_DEP_2)
	v_add_co_u32 v8, vcc_lo, v4, s2
	s_wait_alu 0xfffd
	v_add_co_ci_u32_e32 v9, vcc_lo, s3, v5, vcc_lo
	global_load_b128 v[0:3], v[4:5], off
	s_clause 0x1
	global_load_b128 v[29:32], v35, s[8:9]
	global_load_b128 v[36:39], v35, s[8:9] offset:2704
	global_load_b128 v[4:7], v[8:9], off
	v_add_co_u32 v12, vcc_lo, v8, s2
	s_wait_alu 0xfffd
	v_add_co_ci_u32_e32 v13, vcc_lo, s3, v9, vcc_lo
	global_load_b128 v[8:11], v[12:13], off
	global_load_b128 v[22:25], v35, s[8:9] offset:5408
	v_add_co_u32 v12, vcc_lo, v12, s2
	s_wait_alu 0xfffd
	v_add_co_ci_u32_e32 v13, vcc_lo, s3, v13, vcc_lo
	s_wait_loadcnt 0x4
	scratch_store_b128 off, v[29:32], off offset:136 ; 16-byte Folded Spill
	s_wait_loadcnt 0x3
	scratch_store_b128 off, v[36:39], off offset:184 ; 16-byte Folded Spill
	v_mul_f64_e32 v[14:15], v[2:3], v[31:32]
	v_mul_f64_e32 v[16:17], v[0:1], v[31:32]
	s_wait_loadcnt 0x2
	v_mul_f64_e32 v[20:21], v[4:5], v[38:39]
	v_mul_f64_e32 v[18:19], v[6:7], v[38:39]
	s_delay_alu instid0(VALU_DEP_4) | instskip(NEXT) | instid1(VALU_DEP_4)
	v_fma_f64 v[52:53], v[0:1], v[29:30], v[14:15]
	v_fma_f64 v[54:55], v[2:3], v[29:30], -v[16:17]
	s_wait_loadcnt 0x0
	v_mul_f64_e32 v[14:15], v[10:11], v[24:25]
	v_fma_f64 v[2:3], v[6:7], v[36:37], -v[20:21]
	v_mul_f64_e32 v[6:7], v[8:9], v[24:25]
	global_load_b128 v[29:32], v35, s[8:9] offset:8112
	v_fma_f64 v[0:1], v[4:5], v[36:37], v[18:19]
	v_add_co_u32 v16, vcc_lo, v12, s2
	s_wait_alu 0xfffd
	v_add_co_ci_u32_e32 v17, vcc_lo, s3, v13, vcc_lo
	scratch_store_b128 off, v[22:25], off offset:8 ; 16-byte Folded Spill
	v_fma_f64 v[4:5], v[8:9], v[22:23], v[14:15]
	v_fma_f64 v[6:7], v[10:11], v[22:23], -v[6:7]
	s_clause 0x1
	global_load_b128 v[8:11], v[12:13], off
	global_load_b128 v[12:15], v[16:17], off
	s_wait_loadcnt 0x2
	scratch_store_b128 off, v[29:32], off offset:88 ; 16-byte Folded Spill
	s_wait_loadcnt 0x1
	v_mul_f64_e32 v[18:19], v[10:11], v[31:32]
	v_mul_f64_e32 v[20:21], v[8:9], v[31:32]
	s_delay_alu instid0(VALU_DEP_2) | instskip(NEXT) | instid1(VALU_DEP_2)
	v_fma_f64 v[8:9], v[8:9], v[29:30], v[18:19]
	v_fma_f64 v[10:11], v[10:11], v[29:30], -v[20:21]
	s_clause 0x1
	global_load_b128 v[22:25], v35, s[8:9] offset:10816
	global_load_b128 v[29:32], v35, s[8:9] offset:13520
	s_wait_loadcnt 0x0
	s_clause 0x1
	scratch_store_b128 off, v[29:32], off offset:40
	scratch_store_b128 off, v[22:25], off offset:24
	v_mul_f64_e32 v[20:21], v[12:13], v[24:25]
	v_mul_f64_e32 v[18:19], v[14:15], v[24:25]
	s_delay_alu instid0(VALU_DEP_2) | instskip(SKIP_3) | instid1(VALU_DEP_4)
	v_fma_f64 v[14:15], v[14:15], v[22:23], -v[20:21]
	v_add_co_u32 v20, vcc_lo, v16, s2
	s_wait_alu 0xfffd
	v_add_co_ci_u32_e32 v21, vcc_lo, s3, v17, vcc_lo
	v_fma_f64 v[12:13], v[12:13], v[22:23], v[18:19]
	global_load_b128 v[16:19], v[20:21], off
	s_wait_loadcnt 0x0
	v_mul_f64_e32 v[24:25], v[16:17], v[31:32]
	v_mul_f64_e32 v[22:23], v[18:19], v[31:32]
	s_delay_alu instid0(VALU_DEP_2) | instskip(SKIP_3) | instid1(VALU_DEP_4)
	v_fma_f64 v[18:19], v[18:19], v[29:30], -v[24:25]
	v_add_co_u32 v24, vcc_lo, v20, s2
	s_wait_alu 0xfffd
	v_add_co_ci_u32_e32 v25, vcc_lo, s3, v21, vcc_lo
	v_fma_f64 v[16:17], v[16:17], v[29:30], v[22:23]
	global_load_b128 v[20:23], v[24:25], off
	s_clause 0x1
	global_load_b128 v[36:39], v35, s[8:9] offset:16224
	global_load_b128 v[40:43], v35, s[8:9] offset:18928
	s_wait_loadcnt 0x1
	v_mul_f64_e32 v[29:30], v[20:21], v[38:39]
	v_mul_f64_e32 v[26:27], v[22:23], v[38:39]
	scratch_store_b128 off, v[36:39], off offset:56 ; 16-byte Folded Spill
	s_wait_loadcnt 0x0
	scratch_store_b128 off, v[40:43], off offset:72 ; 16-byte Folded Spill
	v_fma_f64 v[22:23], v[22:23], v[36:37], -v[29:30]
	v_add_co_u32 v29, vcc_lo, v24, s2
	s_wait_alu 0xfffd
	v_add_co_ci_u32_e32 v30, vcc_lo, s3, v25, vcc_lo
	v_fma_f64 v[20:21], v[20:21], v[36:37], v[26:27]
	global_load_b128 v[24:27], v[29:30], off
	s_wait_loadcnt 0x0
	v_mul_f64_e32 v[36:37], v[24:25], v[42:43]
	v_mul_f64_e32 v[31:32], v[26:27], v[42:43]
	s_delay_alu instid0(VALU_DEP_2) | instskip(SKIP_3) | instid1(VALU_DEP_4)
	v_fma_f64 v[26:27], v[26:27], v[40:41], -v[36:37]
	v_add_co_u32 v36, vcc_lo, v29, s2
	s_wait_alu 0xfffd
	v_add_co_ci_u32_e32 v37, vcc_lo, s3, v30, vcc_lo
	v_fma_f64 v[24:25], v[24:25], v[40:41], v[31:32]
	global_load_b128 v[29:32], v[36:37], off
	s_clause 0x1
	global_load_b128 v[40:43], v35, s[8:9] offset:21632
	global_load_b128 v[46:49], v35, s[8:9] offset:24336
	s_wait_loadcnt 0x1
	v_mul_f64_e32 v[44:45], v[29:30], v[42:43]
	v_mul_f64_e32 v[38:39], v[31:32], v[42:43]
	scratch_store_b128 off, v[40:43], off offset:104 ; 16-byte Folded Spill
	v_fma_f64 v[31:32], v[31:32], v[40:41], -v[44:45]
	v_add_co_u32 v44, vcc_lo, v36, s2
	s_wait_alu 0xfffd
	v_add_co_ci_u32_e32 v45, vcc_lo, s3, v37, vcc_lo
	v_fma_f64 v[29:30], v[29:30], v[40:41], v[38:39]
	s_wait_loadcnt 0x0
	v_dual_mov_b32 v40, v46 :: v_dual_mov_b32 v41, v47
	v_mov_b32_e32 v42, v48
	global_load_b128 v[36:39], v[44:45], off
	v_mov_b32_e32 v43, v49
	v_add_co_u32 v64, vcc_lo, v44, s2
	s_wait_alu 0xfffd
	v_add_co_ci_u32_e32 v65, vcc_lo, s3, v45, vcc_lo
	scratch_store_b128 off, v[40:43], off offset:120 ; 16-byte Folded Spill
	v_add_co_u32 v68, vcc_lo, v64, s2
	s_wait_alu 0xfffd
	v_add_co_ci_u32_e32 v69, vcc_lo, s3, v65, vcc_lo
	s_wait_loadcnt 0x0
	v_mul_f64_e32 v[46:47], v[38:39], v[42:43]
	v_mul_f64_e32 v[48:49], v[36:37], v[42:43]
	s_delay_alu instid0(VALU_DEP_2) | instskip(NEXT) | instid1(VALU_DEP_2)
	v_fma_f64 v[56:57], v[36:37], v[40:41], v[46:47]
	v_fma_f64 v[58:59], v[38:39], v[40:41], -v[48:49]
	global_load_b128 v[36:39], v[64:65], off
	s_clause 0x1
	global_load_b128 v[40:43], v35, s[8:9] offset:27040
	global_load_b128 v[44:47], v35, s[8:9] offset:29744
	s_wait_loadcnt 0x1
	v_mul_f64_e32 v[60:61], v[38:39], v[42:43]
	v_mul_f64_e32 v[62:63], v[36:37], v[42:43]
	scratch_store_b128 off, v[40:43], off offset:152 ; 16-byte Folded Spill
	s_wait_loadcnt 0x0
	scratch_store_b128 off, v[44:47], off offset:168 ; 16-byte Folded Spill
	v_fma_f64 v[60:61], v[36:37], v[40:41], v[60:61]
	v_fma_f64 v[62:63], v[38:39], v[40:41], -v[62:63]
	global_load_b128 v[36:39], v[68:69], off
	s_wait_loadcnt 0x0
	v_mul_f64_e32 v[64:65], v[38:39], v[46:47]
	v_mul_f64_e32 v[66:67], v[36:37], v[46:47]
	s_delay_alu instid0(VALU_DEP_2) | instskip(SKIP_3) | instid1(VALU_DEP_4)
	v_fma_f64 v[64:65], v[36:37], v[44:45], v[64:65]
	v_add_co_u32 v36, vcc_lo, v68, s2
	s_wait_alu 0xfffd
	v_add_co_ci_u32_e32 v37, vcc_lo, s3, v69, vcc_lo
	v_fma_f64 v[66:67], v[38:39], v[44:45], -v[66:67]
	global_load_b128 v[68:71], v[36:37], off
	global_load_b128 v[36:39], v35, s[8:9] offset:32448
	s_mov_b32 s2, 0x2ef20147
	s_mov_b32 s3, 0xbfedeba7
	s_wait_alu 0xfffe
	s_mov_b32 s42, s2
	s_wait_loadcnt 0x0
	v_mul_f64_e32 v[72:73], v[70:71], v[38:39]
	v_mul_f64_e32 v[74:75], v[68:69], v[38:39]
	scratch_store_b128 off, v[36:39], off offset:200 ; 16-byte Folded Spill
	v_fma_f64 v[68:69], v[68:69], v[36:37], v[72:73]
	v_fma_f64 v[70:71], v[70:71], v[36:37], -v[74:75]
	ds_store_b128 v35, v[52:55]
	ds_store_b128 v35, v[0:3] offset:2704
	ds_store_b128 v35, v[4:7] offset:5408
	;; [unrolled: 1-line block ×12, first 2 shown]
	s_load_b128 s[4:7], s[6:7], 0x0
	global_wb scope:SCOPE_SE
	s_wait_storecnt_dscnt 0x0
	s_wait_kmcnt 0x0
	s_barrier_signal -1
	s_barrier_wait -1
	global_inv scope:SCOPE_SE
	ds_load_b128 v[52:55], v35
	ds_load_b128 v[56:59], v35 offset:2704
	ds_load_b128 v[60:63], v35 offset:5408
	;; [unrolled: 1-line block ×9, first 2 shown]
	s_wait_dscnt 0x8
	v_add_f64_e32 v[0:1], v[52:53], v[56:57]
	v_add_f64_e32 v[2:3], v[54:55], v[58:59]
	s_wait_dscnt 0x2
	v_add_f64_e32 v[84:85], v[76:77], v[80:81]
	v_add_f64_e32 v[86:87], v[78:79], v[82:83]
	s_wait_dscnt 0x0
	v_add_f64_e64 v[88:89], v[68:69], -v[8:9]
	v_add_f64_e64 v[90:91], v[70:71], -v[10:11]
	v_add_f64_e32 v[0:1], v[0:1], v[60:61]
	v_add_f64_e32 v[2:3], v[2:3], v[62:63]
	s_delay_alu instid0(VALU_DEP_2) | instskip(NEXT) | instid1(VALU_DEP_2)
	v_add_f64_e32 v[0:1], v[0:1], v[64:65]
	v_add_f64_e32 v[2:3], v[2:3], v[66:67]
	s_delay_alu instid0(VALU_DEP_2) | instskip(NEXT) | instid1(VALU_DEP_2)
	;; [unrolled: 3-line block ×4, first 2 shown]
	v_add_f64_e32 v[0:1], v[0:1], v[76:77]
	v_add_f64_e32 v[2:3], v[2:3], v[78:79]
	v_add_f64_e64 v[76:77], v[76:77], -v[80:81]
	v_add_f64_e64 v[78:79], v[78:79], -v[82:83]
	s_delay_alu instid0(VALU_DEP_4) | instskip(NEXT) | instid1(VALU_DEP_4)
	v_add_f64_e32 v[12:13], v[0:1], v[80:81]
	v_add_f64_e32 v[14:15], v[2:3], v[82:83]
	;; [unrolled: 1-line block ×4, first 2 shown]
	v_add_f64_e64 v[80:81], v[72:73], -v[4:5]
	v_add_f64_e64 v[82:83], v[74:75], -v[6:7]
	v_add_f64_e32 v[72:73], v[68:69], v[8:9]
	v_add_f64_e32 v[74:75], v[70:71], v[10:11]
	;; [unrolled: 1-line block ×4, first 2 shown]
	s_delay_alu instid0(VALU_DEP_2) | instskip(NEXT) | instid1(VALU_DEP_2)
	v_add_f64_e32 v[14:15], v[4:5], v[8:9]
	v_add_f64_e32 v[16:17], v[6:7], v[10:11]
	ds_load_b128 v[6:9], v35 offset:27040
	ds_load_b128 v[10:13], v35 offset:29744
	s_wait_dscnt 0x1
	v_add_f64_e32 v[70:71], v[66:67], v[8:9]
	v_add_f64_e64 v[4:5], v[66:67], -v[8:9]
	v_add_f64_e32 v[68:69], v[64:65], v[6:7]
	v_add_f64_e64 v[92:93], v[64:65], -v[6:7]
	s_wait_dscnt 0x0
	v_add_f64_e32 v[64:65], v[60:61], v[10:11]
	v_add_f64_e32 v[66:67], v[62:63], v[12:13]
	v_add_f64_e32 v[14:15], v[14:15], v[6:7]
	v_add_f64_e32 v[8:9], v[16:17], v[8:9]
	v_add_f64_e64 v[6:7], v[60:61], -v[10:11]
	v_add_f64_e64 v[60:61], v[62:63], -v[12:13]
	s_delay_alu instid0(VALU_DEP_4) | instskip(NEXT) | instid1(VALU_DEP_4)
	v_add_f64_e32 v[14:15], v[14:15], v[10:11]
	v_add_f64_e32 v[12:13], v[8:9], v[12:13]
	ds_load_b128 v[8:11], v35 offset:32448
	global_wb scope:SCOPE_SE
	s_wait_dscnt 0x0
	s_barrier_signal -1
	s_barrier_wait -1
	global_inv scope:SCOPE_SE
	v_add_f64_e64 v[16:17], v[58:59], -v[10:11]
	v_add_f64_e32 v[18:19], v[56:57], v[8:9]
	v_add_f64_e32 v[20:21], v[58:59], v[10:11]
	v_add_f64_e64 v[22:23], v[56:57], -v[8:9]
	v_add_f64_e32 v[56:57], v[14:15], v[8:9]
	v_add_f64_e32 v[58:59], v[12:13], v[10:11]
	v_mul_f64_e32 v[8:9], s[28:29], v[16:17]
	v_mul_f64_e32 v[10:11], s[26:27], v[16:17]
	;; [unrolled: 1-line block ×7, first 2 shown]
	v_fma_f64 v[26:27], v[18:19], s[22:23], -v[8:9]
	v_fma_f64 v[8:9], v[18:19], s[22:23], v[8:9]
	v_fma_f64 v[29:30], v[18:19], s[20:21], -v[10:11]
	v_fma_f64 v[31:32], v[18:19], s[20:21], v[10:11]
	;; [unrolled: 2-line block ×6, first 2 shown]
	v_mul_f64_e32 v[10:11], s[28:29], v[22:23]
	v_mul_f64_e32 v[16:17], s[26:27], v[22:23]
	;; [unrolled: 1-line block ×5, first 2 shown]
	v_fma_f64 v[116:117], v[20:21], s[24:25], v[62:63]
	v_fma_f64 v[118:119], v[20:21], s[24:25], -v[62:63]
	v_add_f64_e32 v[62:63], v[52:53], v[26:27]
	v_add_f64_e32 v[29:30], v[52:53], v[29:30]
	;; [unrolled: 1-line block ×7, first 2 shown]
	v_mul_f64_e32 v[98:99], s[34:35], v[4:5]
	v_add_f64_e32 v[14:15], v[52:53], v[106:107]
	v_fma_f64 v[108:109], v[20:21], s[22:23], -v[10:11]
	v_fma_f64 v[110:111], v[20:21], s[20:21], v[16:17]
	v_fma_f64 v[112:113], v[20:21], s[12:13], v[18:19]
	v_fma_f64 v[18:19], v[20:21], s[12:13], -v[18:19]
	v_fma_f64 v[94:95], v[20:21], s[22:23], v[10:11]
	v_fma_f64 v[120:121], v[20:21], s[30:31], v[22:23]
	v_fma_f64 v[122:123], v[20:21], s[30:31], -v[22:23]
	v_add_f64_e32 v[10:11], v[52:53], v[8:9]
	v_add_f64_e32 v[22:23], v[52:53], v[102:103]
	v_fma_f64 v[16:17], v[20:21], s[20:21], -v[16:17]
	v_fma_f64 v[114:115], v[20:21], s[18:19], v[24:25]
	v_fma_f64 v[24:25], v[20:21], s[18:19], -v[24:25]
	v_add_f64_e32 v[20:21], v[54:55], v[118:119]
	v_fma_f64 v[100:101], v[68:69], s[30:31], -v[98:99]
	v_fma_f64 v[98:99], v[68:69], s[30:31], v[98:99]
	v_add_f64_e32 v[8:9], v[54:55], v[108:109]
	v_add_f64_e32 v[108:109], v[54:55], v[110:111]
	;; [unrolled: 1-line block ×5, first 2 shown]
	v_mul_f64_e32 v[52:53], s[2:3], v[60:61]
	v_add_f64_e32 v[94:95], v[54:55], v[94:95]
	v_add_f64_e32 v[112:113], v[54:55], v[112:113]
	;; [unrolled: 1-line block ×8, first 2 shown]
	v_mul_f64_e32 v[54:55], s[2:3], v[6:7]
	v_fma_f64 v[31:32], v[64:65], s[18:19], -v[52:53]
	v_fma_f64 v[52:53], v[64:65], s[18:19], v[52:53]
	s_delay_alu instid0(VALU_DEP_2) | instskip(NEXT) | instid1(VALU_DEP_4)
	v_add_f64_e32 v[29:30], v[31:32], v[29:30]
	v_fma_f64 v[31:32], v[66:67], s[18:19], v[54:55]
	s_delay_alu instid0(VALU_DEP_3) | instskip(SKIP_1) | instid1(VALU_DEP_4)
	v_add_f64_e32 v[52:53], v[52:53], v[110:111]
	v_fma_f64 v[54:55], v[66:67], s[18:19], -v[54:55]
	v_add_f64_e32 v[29:30], v[100:101], v[29:30]
	v_mul_f64_e32 v[100:101], s[34:35], v[92:93]
	v_add_f64_e32 v[31:32], v[31:32], v[108:109]
	s_delay_alu instid0(VALU_DEP_4) | instskip(SKIP_1) | instid1(VALU_DEP_4)
	v_add_f64_e32 v[54:55], v[54:55], v[124:125]
	v_add_f64_e32 v[52:53], v[98:99], v[52:53]
	v_fma_f64 v[102:103], v[70:71], s[30:31], v[100:101]
	v_fma_f64 v[98:99], v[70:71], s[30:31], -v[100:101]
	s_delay_alu instid0(VALU_DEP_2) | instskip(SKIP_1) | instid1(VALU_DEP_3)
	v_add_f64_e32 v[31:32], v[102:103], v[31:32]
	v_mul_f64_e32 v[102:103], s[40:41], v[90:91]
	v_add_f64_e32 v[54:55], v[98:99], v[54:55]
	s_delay_alu instid0(VALU_DEP_2) | instskip(SKIP_2) | instid1(VALU_DEP_3)
	v_fma_f64 v[104:105], v[72:73], s[24:25], -v[102:103]
	v_fma_f64 v[98:99], v[72:73], s[24:25], v[102:103]
	v_mul_f64_e32 v[102:103], s[34:35], v[6:7]
	v_add_f64_e32 v[29:30], v[104:105], v[29:30]
	v_mul_f64_e32 v[104:105], s[40:41], v[88:89]
	s_delay_alu instid0(VALU_DEP_4) | instskip(NEXT) | instid1(VALU_DEP_2)
	v_add_f64_e32 v[52:53], v[98:99], v[52:53]
	v_fma_f64 v[106:107], v[74:75], s[24:25], v[104:105]
	v_fma_f64 v[98:99], v[74:75], s[24:25], -v[104:105]
	v_mul_f64_e32 v[104:105], s[42:43], v[4:5]
	s_delay_alu instid0(VALU_DEP_3) | instskip(SKIP_1) | instid1(VALU_DEP_4)
	v_add_f64_e32 v[31:32], v[106:107], v[31:32]
	v_mul_f64_e32 v[106:107], s[36:37], v[82:83]
	v_add_f64_e32 v[54:55], v[98:99], v[54:55]
	s_delay_alu instid0(VALU_DEP_2) | instskip(SKIP_3) | instid1(VALU_DEP_4)
	v_fma_f64 v[108:109], v[0:1], s[12:13], -v[106:107]
	v_fma_f64 v[98:99], v[0:1], s[12:13], v[106:107]
	v_fma_f64 v[106:107], v[68:69], s[18:19], -v[104:105]
	v_fma_f64 v[104:105], v[68:69], s[18:19], v[104:105]
	v_add_f64_e32 v[29:30], v[108:109], v[29:30]
	v_mul_f64_e32 v[108:109], s[36:37], v[80:81]
	v_add_f64_e32 v[52:53], v[98:99], v[52:53]
	s_delay_alu instid0(VALU_DEP_2) | instskip(SKIP_1) | instid1(VALU_DEP_2)
	v_fma_f64 v[116:117], v[2:3], s[12:13], v[108:109]
	v_fma_f64 v[98:99], v[2:3], s[12:13], -v[108:109]
	v_add_f64_e32 v[31:32], v[116:117], v[31:32]
	v_mul_f64_e32 v[116:117], s[38:39], v[78:79]
	s_delay_alu instid0(VALU_DEP_3) | instskip(NEXT) | instid1(VALU_DEP_2)
	v_add_f64_e32 v[54:55], v[98:99], v[54:55]
	v_fma_f64 v[118:119], v[84:85], s[22:23], -v[116:117]
	v_fma_f64 v[98:99], v[84:85], s[22:23], v[116:117]
	s_delay_alu instid0(VALU_DEP_2) | instskip(SKIP_1) | instid1(VALU_DEP_3)
	v_add_f64_e32 v[29:30], v[118:119], v[29:30]
	v_mul_f64_e32 v[118:119], s[38:39], v[76:77]
	v_add_f64_e32 v[52:53], v[98:99], v[52:53]
	s_delay_alu instid0(VALU_DEP_2) | instskip(SKIP_1) | instid1(VALU_DEP_2)
	v_fma_f64 v[100:101], v[86:87], s[22:23], -v[118:119]
	v_fma_f64 v[120:121], v[86:87], s[22:23], v[118:119]
	v_add_f64_e32 v[54:55], v[100:101], v[54:55]
	v_mul_f64_e32 v[100:101], s[34:35], v[60:61]
	s_delay_alu instid0(VALU_DEP_3) | instskip(NEXT) | instid1(VALU_DEP_2)
	v_add_f64_e32 v[31:32], v[120:121], v[31:32]
	v_fma_f64 v[98:99], v[64:65], s[30:31], -v[100:101]
	v_fma_f64 v[100:101], v[64:65], s[30:31], v[100:101]
	s_delay_alu instid0(VALU_DEP_2) | instskip(SKIP_1) | instid1(VALU_DEP_3)
	v_add_f64_e32 v[96:97], v[98:99], v[96:97]
	v_fma_f64 v[98:99], v[66:67], s[30:31], v[102:103]
	v_add_f64_e32 v[100:101], v[100:101], v[126:127]
	v_fma_f64 v[102:103], v[66:67], s[30:31], -v[102:103]
	s_delay_alu instid0(VALU_DEP_4) | instskip(SKIP_2) | instid1(VALU_DEP_4)
	v_add_f64_e32 v[96:97], v[106:107], v[96:97]
	v_mul_f64_e32 v[106:107], s[42:43], v[92:93]
	v_add_f64_e32 v[98:99], v[98:99], v[112:113]
	v_add_f64_e32 v[102:103], v[102:103], v[128:129]
	;; [unrolled: 1-line block ×3, first 2 shown]
	s_delay_alu instid0(VALU_DEP_4) | instskip(SKIP_1) | instid1(VALU_DEP_2)
	v_fma_f64 v[108:109], v[70:71], s[18:19], v[106:107]
	v_fma_f64 v[104:105], v[70:71], s[18:19], -v[106:107]
	v_add_f64_e32 v[98:99], v[108:109], v[98:99]
	v_mul_f64_e32 v[108:109], s[38:39], v[90:91]
	s_delay_alu instid0(VALU_DEP_3) | instskip(NEXT) | instid1(VALU_DEP_2)
	v_add_f64_e32 v[102:103], v[104:105], v[102:103]
	v_fma_f64 v[110:111], v[72:73], s[22:23], -v[108:109]
	v_fma_f64 v[104:105], v[72:73], s[22:23], v[108:109]
	v_mul_f64_e32 v[108:109], s[40:41], v[60:61]
	s_delay_alu instid0(VALU_DEP_3) | instskip(SKIP_1) | instid1(VALU_DEP_4)
	v_add_f64_e32 v[96:97], v[110:111], v[96:97]
	v_mul_f64_e32 v[110:111], s[38:39], v[88:89]
	v_add_f64_e32 v[100:101], v[104:105], v[100:101]
	s_delay_alu instid0(VALU_DEP_2) | instskip(SKIP_2) | instid1(VALU_DEP_3)
	v_fma_f64 v[112:113], v[74:75], s[22:23], v[110:111]
	v_fma_f64 v[104:105], v[74:75], s[22:23], -v[110:111]
	v_mul_f64_e32 v[110:111], s[40:41], v[6:7]
	v_add_f64_e32 v[98:99], v[112:113], v[98:99]
	v_mul_f64_e32 v[112:113], s[26:27], v[82:83]
	s_delay_alu instid0(VALU_DEP_4) | instskip(NEXT) | instid1(VALU_DEP_2)
	v_add_f64_e32 v[102:103], v[104:105], v[102:103]
	v_fma_f64 v[116:117], v[0:1], s[20:21], -v[112:113]
	v_fma_f64 v[104:105], v[0:1], s[20:21], v[112:113]
	v_mul_f64_e32 v[112:113], s[38:39], v[4:5]
	s_delay_alu instid0(VALU_DEP_3) | instskip(SKIP_1) | instid1(VALU_DEP_4)
	v_add_f64_e32 v[96:97], v[116:117], v[96:97]
	v_mul_f64_e32 v[116:117], s[26:27], v[80:81]
	v_add_f64_e32 v[100:101], v[104:105], v[100:101]
	s_delay_alu instid0(VALU_DEP_2) | instskip(SKIP_1) | instid1(VALU_DEP_2)
	v_fma_f64 v[118:119], v[2:3], s[20:21], v[116:117]
	v_fma_f64 v[104:105], v[2:3], s[20:21], -v[116:117]
	v_add_f64_e32 v[98:99], v[118:119], v[98:99]
	v_mul_f64_e32 v[118:119], s[14:15], v[78:79]
	s_delay_alu instid0(VALU_DEP_3) | instskip(NEXT) | instid1(VALU_DEP_2)
	v_add_f64_e32 v[102:103], v[104:105], v[102:103]
	v_fma_f64 v[120:121], v[84:85], s[24:25], -v[118:119]
	v_fma_f64 v[104:105], v[84:85], s[24:25], v[118:119]
	s_delay_alu instid0(VALU_DEP_2) | instskip(SKIP_1) | instid1(VALU_DEP_3)
	v_add_f64_e32 v[96:97], v[120:121], v[96:97]
	v_mul_f64_e32 v[120:121], s[14:15], v[76:77]
	v_add_f64_e32 v[100:101], v[104:105], v[100:101]
	v_fma_f64 v[104:105], v[64:65], s[24:25], -v[108:109]
	v_fma_f64 v[108:109], v[64:65], s[24:25], v[108:109]
	s_delay_alu instid0(VALU_DEP_4) | instskip(SKIP_1) | instid1(VALU_DEP_4)
	v_fma_f64 v[106:107], v[86:87], s[24:25], -v[120:121]
	v_fma_f64 v[122:123], v[86:87], s[24:25], v[120:121]
	v_add_f64_e32 v[104:105], v[104:105], v[130:131]
	s_delay_alu instid0(VALU_DEP_4)
	v_add_f64_e32 v[108:109], v[108:109], v[132:133]
	v_mul_f64_e32 v[130:131], s[2:3], v[78:79]
	v_mul_f64_e32 v[132:133], s[2:3], v[76:77]
	v_add_f64_e32 v[102:103], v[106:107], v[102:103]
	v_fma_f64 v[106:107], v[66:67], s[24:25], v[110:111]
	v_fma_f64 v[110:111], v[66:67], s[24:25], -v[110:111]
	v_add_f64_e32 v[98:99], v[122:123], v[98:99]
	s_delay_alu instid0(VALU_DEP_3) | instskip(SKIP_3) | instid1(VALU_DEP_3)
	v_add_f64_e32 v[106:107], v[106:107], v[114:115]
	v_fma_f64 v[114:115], v[68:69], s[22:23], -v[112:113]
	v_fma_f64 v[112:113], v[68:69], s[22:23], v[112:113]
	v_add_f64_e32 v[110:111], v[110:111], v[134:135]
	v_add_f64_e32 v[104:105], v[114:115], v[104:105]
	v_mul_f64_e32 v[114:115], s[38:39], v[92:93]
	s_delay_alu instid0(VALU_DEP_4) | instskip(NEXT) | instid1(VALU_DEP_2)
	v_add_f64_e32 v[108:109], v[112:113], v[108:109]
	v_fma_f64 v[116:117], v[70:71], s[22:23], v[114:115]
	v_fma_f64 v[112:113], v[70:71], s[22:23], -v[114:115]
	s_delay_alu instid0(VALU_DEP_2) | instskip(SKIP_1) | instid1(VALU_DEP_3)
	v_add_f64_e32 v[106:107], v[116:117], v[106:107]
	v_mul_f64_e32 v[116:117], s[16:17], v[90:91]
	v_add_f64_e32 v[110:111], v[112:113], v[110:111]
	s_delay_alu instid0(VALU_DEP_2) | instskip(SKIP_1) | instid1(VALU_DEP_2)
	v_fma_f64 v[118:119], v[72:73], s[12:13], -v[116:117]
	v_fma_f64 v[112:113], v[72:73], s[12:13], v[116:117]
	v_add_f64_e32 v[104:105], v[118:119], v[104:105]
	v_mul_f64_e32 v[118:119], s[16:17], v[88:89]
	s_delay_alu instid0(VALU_DEP_3) | instskip(NEXT) | instid1(VALU_DEP_2)
	v_add_f64_e32 v[108:109], v[112:113], v[108:109]
	v_fma_f64 v[120:121], v[74:75], s[12:13], v[118:119]
	v_fma_f64 v[112:113], v[74:75], s[12:13], -v[118:119]
	s_delay_alu instid0(VALU_DEP_2) | instskip(SKIP_1) | instid1(VALU_DEP_3)
	v_add_f64_e32 v[106:107], v[120:121], v[106:107]
	v_mul_f64_e32 v[120:121], s[46:47], v[82:83]
	v_add_f64_e32 v[110:111], v[112:113], v[110:111]
	s_delay_alu instid0(VALU_DEP_2) | instskip(SKIP_1) | instid1(VALU_DEP_2)
	v_fma_f64 v[122:123], v[0:1], s[30:31], -v[120:121]
	v_fma_f64 v[112:113], v[0:1], s[30:31], v[120:121]
	v_add_f64_e32 v[104:105], v[122:123], v[104:105]
	v_mul_f64_e32 v[122:123], s[46:47], v[80:81]
	s_delay_alu instid0(VALU_DEP_3) | instskip(NEXT) | instid1(VALU_DEP_2)
	v_add_f64_e32 v[108:109], v[112:113], v[108:109]
	v_fma_f64 v[124:125], v[2:3], s[30:31], v[122:123]
	v_fma_f64 v[112:113], v[2:3], s[30:31], -v[122:123]
	s_delay_alu instid0(VALU_DEP_2) | instskip(SKIP_1) | instid1(VALU_DEP_3)
	v_add_f64_e32 v[106:107], v[124:125], v[106:107]
	v_mul_f64_e32 v[124:125], s[44:45], v[78:79]
	v_add_f64_e32 v[110:111], v[112:113], v[110:111]
	s_delay_alu instid0(VALU_DEP_2) | instskip(SKIP_1) | instid1(VALU_DEP_2)
	v_fma_f64 v[126:127], v[84:85], s[20:21], -v[124:125]
	v_fma_f64 v[112:113], v[84:85], s[20:21], v[124:125]
	v_add_f64_e32 v[104:105], v[126:127], v[104:105]
	v_mul_f64_e32 v[126:127], s[44:45], v[76:77]
	s_delay_alu instid0(VALU_DEP_3) | instskip(SKIP_1) | instid1(VALU_DEP_3)
	v_add_f64_e32 v[108:109], v[112:113], v[108:109]
	v_mul_f64_e32 v[112:113], s[36:37], v[60:61]
	v_fma_f64 v[114:115], v[86:87], s[20:21], -v[126:127]
	v_fma_f64 v[128:129], v[86:87], s[20:21], v[126:127]
	s_delay_alu instid0(VALU_DEP_2) | instskip(NEXT) | instid1(VALU_DEP_4)
	v_add_f64_e32 v[110:111], v[114:115], v[110:111]
	v_fma_f64 v[114:115], v[64:65], s[12:13], -v[112:113]
	v_fma_f64 v[112:113], v[64:65], s[12:13], v[112:113]
	s_delay_alu instid0(VALU_DEP_4) | instskip(NEXT) | instid1(VALU_DEP_3)
	v_add_f64_e32 v[106:107], v[128:129], v[106:107]
	v_add_f64_e32 v[26:27], v[114:115], v[26:27]
	v_mul_f64_e32 v[114:115], s[36:37], v[6:7]
	s_delay_alu instid0(VALU_DEP_4) | instskip(NEXT) | instid1(VALU_DEP_2)
	v_add_f64_e32 v[22:23], v[112:113], v[22:23]
	v_fma_f64 v[116:117], v[66:67], s[12:13], v[114:115]
	v_fma_f64 v[112:113], v[66:67], s[12:13], -v[114:115]
	v_fma_f64 v[114:115], v[86:87], s[18:19], -v[132:133]
	s_delay_alu instid0(VALU_DEP_3) | instskip(SKIP_1) | instid1(VALU_DEP_4)
	v_add_f64_e32 v[24:25], v[116:117], v[24:25]
	v_mul_f64_e32 v[116:117], s[26:27], v[4:5]
	v_add_f64_e32 v[20:21], v[112:113], v[20:21]
	s_delay_alu instid0(VALU_DEP_2) | instskip(SKIP_1) | instid1(VALU_DEP_2)
	v_fma_f64 v[118:119], v[68:69], s[20:21], -v[116:117]
	v_fma_f64 v[112:113], v[68:69], s[20:21], v[116:117]
	v_add_f64_e32 v[26:27], v[118:119], v[26:27]
	v_mul_f64_e32 v[118:119], s[26:27], v[92:93]
	s_delay_alu instid0(VALU_DEP_3) | instskip(NEXT) | instid1(VALU_DEP_2)
	v_add_f64_e32 v[22:23], v[112:113], v[22:23]
	v_fma_f64 v[120:121], v[70:71], s[20:21], v[118:119]
	v_fma_f64 v[112:113], v[70:71], s[20:21], -v[118:119]
	s_delay_alu instid0(VALU_DEP_2) | instskip(SKIP_1) | instid1(VALU_DEP_3)
	v_add_f64_e32 v[24:25], v[120:121], v[24:25]
	v_mul_f64_e32 v[120:121], s[46:47], v[90:91]
	v_add_f64_e32 v[20:21], v[112:113], v[20:21]
	s_delay_alu instid0(VALU_DEP_2) | instskip(SKIP_1) | instid1(VALU_DEP_2)
	v_fma_f64 v[122:123], v[72:73], s[30:31], -v[120:121]
	v_fma_f64 v[112:113], v[72:73], s[30:31], v[120:121]
	v_add_f64_e32 v[26:27], v[122:123], v[26:27]
	v_mul_f64_e32 v[122:123], s[46:47], v[88:89]
	s_delay_alu instid0(VALU_DEP_3) | instskip(NEXT) | instid1(VALU_DEP_2)
	v_add_f64_e32 v[22:23], v[112:113], v[22:23]
	v_fma_f64 v[124:125], v[74:75], s[30:31], v[122:123]
	v_fma_f64 v[112:113], v[74:75], s[30:31], -v[122:123]
	s_delay_alu instid0(VALU_DEP_2) | instskip(SKIP_1) | instid1(VALU_DEP_3)
	v_add_f64_e32 v[24:25], v[124:125], v[24:25]
	v_mul_f64_e32 v[124:125], s[38:39], v[82:83]
	v_add_f64_e32 v[20:21], v[112:113], v[20:21]
	s_delay_alu instid0(VALU_DEP_2) | instskip(SKIP_1) | instid1(VALU_DEP_2)
	v_fma_f64 v[126:127], v[0:1], s[22:23], -v[124:125]
	v_fma_f64 v[112:113], v[0:1], s[22:23], v[124:125]
	v_add_f64_e32 v[26:27], v[126:127], v[26:27]
	v_mul_f64_e32 v[126:127], s[38:39], v[80:81]
	s_delay_alu instid0(VALU_DEP_3) | instskip(NEXT) | instid1(VALU_DEP_2)
	v_add_f64_e32 v[22:23], v[112:113], v[22:23]
	v_fma_f64 v[112:113], v[2:3], s[22:23], -v[126:127]
	v_fma_f64 v[128:129], v[2:3], s[22:23], v[126:127]
	s_delay_alu instid0(VALU_DEP_2) | instskip(SKIP_1) | instid1(VALU_DEP_3)
	v_add_f64_e32 v[112:113], v[112:113], v[20:21]
	v_fma_f64 v[20:21], v[84:85], s[18:19], v[130:131]
	v_add_f64_e32 v[128:129], v[128:129], v[24:25]
	v_fma_f64 v[24:25], v[84:85], s[18:19], -v[130:131]
	v_mul_f64_e32 v[130:131], s[36:37], v[78:79]
	v_mul_f64_e32 v[78:79], s[34:35], v[78:79]
	v_add_f64_e32 v[20:21], v[20:21], v[22:23]
	v_add_f64_e32 v[22:23], v[114:115], v[112:113]
	v_mul_f64_e32 v[112:113], s[38:39], v[60:61]
	v_add_f64_e32 v[24:25], v[24:25], v[26:27]
	v_fma_f64 v[26:27], v[86:87], s[18:19], v[132:133]
	v_mul_f64_e32 v[132:133], s[36:37], v[76:77]
	v_mul_f64_e32 v[60:61], s[26:27], v[60:61]
	v_mul_f64_e32 v[76:77], s[34:35], v[76:77]
	v_fma_f64 v[114:115], v[64:65], s[22:23], -v[112:113]
	v_fma_f64 v[112:113], v[64:65], s[22:23], v[112:113]
	v_add_f64_e32 v[26:27], v[26:27], v[128:129]
	s_delay_alu instid0(VALU_DEP_3) | instskip(SKIP_1) | instid1(VALU_DEP_4)
	v_add_f64_e32 v[18:19], v[114:115], v[18:19]
	v_mul_f64_e32 v[114:115], s[38:39], v[6:7]
	v_add_f64_e32 v[14:15], v[112:113], v[14:15]
	s_delay_alu instid0(VALU_DEP_2) | instskip(SKIP_2) | instid1(VALU_DEP_3)
	v_fma_f64 v[116:117], v[66:67], s[22:23], v[114:115]
	v_fma_f64 v[112:113], v[66:67], s[22:23], -v[114:115]
	v_fma_f64 v[114:115], v[86:87], s[12:13], -v[132:133]
	v_add_f64_e32 v[16:17], v[116:117], v[16:17]
	v_mul_f64_e32 v[116:117], s[14:15], v[4:5]
	s_delay_alu instid0(VALU_DEP_4) | instskip(NEXT) | instid1(VALU_DEP_2)
	v_add_f64_e32 v[12:13], v[112:113], v[12:13]
	v_fma_f64 v[118:119], v[68:69], s[24:25], -v[116:117]
	v_fma_f64 v[112:113], v[68:69], s[24:25], v[116:117]
	s_delay_alu instid0(VALU_DEP_2) | instskip(SKIP_1) | instid1(VALU_DEP_3)
	v_add_f64_e32 v[18:19], v[118:119], v[18:19]
	v_mul_f64_e32 v[118:119], s[14:15], v[92:93]
	v_add_f64_e32 v[14:15], v[112:113], v[14:15]
	s_delay_alu instid0(VALU_DEP_2) | instskip(SKIP_1) | instid1(VALU_DEP_2)
	v_fma_f64 v[120:121], v[70:71], s[24:25], v[118:119]
	v_fma_f64 v[112:113], v[70:71], s[24:25], -v[118:119]
	v_add_f64_e32 v[16:17], v[120:121], v[16:17]
	v_mul_f64_e32 v[120:121], s[44:45], v[90:91]
	s_delay_alu instid0(VALU_DEP_3) | instskip(SKIP_1) | instid1(VALU_DEP_3)
	v_add_f64_e32 v[12:13], v[112:113], v[12:13]
	v_mul_f64_e32 v[90:91], s[2:3], v[90:91]
	v_fma_f64 v[122:123], v[72:73], s[20:21], -v[120:121]
	v_fma_f64 v[112:113], v[72:73], s[20:21], v[120:121]
	s_delay_alu instid0(VALU_DEP_2) | instskip(SKIP_1) | instid1(VALU_DEP_3)
	v_add_f64_e32 v[18:19], v[122:123], v[18:19]
	v_mul_f64_e32 v[122:123], s[44:45], v[88:89]
	v_add_f64_e32 v[14:15], v[112:113], v[14:15]
	v_mul_f64_e32 v[88:89], s[2:3], v[88:89]
	s_delay_alu instid0(VALU_DEP_3) | instskip(SKIP_1) | instid1(VALU_DEP_2)
	v_fma_f64 v[124:125], v[74:75], s[20:21], v[122:123]
	v_fma_f64 v[112:113], v[74:75], s[20:21], -v[122:123]
	v_add_f64_e32 v[16:17], v[124:125], v[16:17]
	v_mul_f64_e32 v[124:125], s[2:3], v[82:83]
	s_delay_alu instid0(VALU_DEP_3) | instskip(SKIP_1) | instid1(VALU_DEP_3)
	v_add_f64_e32 v[12:13], v[112:113], v[12:13]
	v_mul_f64_e32 v[82:83], s[14:15], v[82:83]
	v_fma_f64 v[126:127], v[0:1], s[18:19], -v[124:125]
	v_fma_f64 v[112:113], v[0:1], s[18:19], v[124:125]
	s_delay_alu instid0(VALU_DEP_2) | instskip(SKIP_1) | instid1(VALU_DEP_3)
	v_add_f64_e32 v[18:19], v[126:127], v[18:19]
	v_mul_f64_e32 v[126:127], s[2:3], v[80:81]
	v_add_f64_e32 v[14:15], v[112:113], v[14:15]
	v_mul_f64_e32 v[80:81], s[14:15], v[80:81]
	s_delay_alu instid0(VALU_DEP_3) | instskip(SKIP_1) | instid1(VALU_DEP_2)
	v_fma_f64 v[112:113], v[2:3], s[18:19], -v[126:127]
	v_fma_f64 v[128:129], v[2:3], s[18:19], v[126:127]
	v_add_f64_e32 v[112:113], v[112:113], v[12:13]
	v_fma_f64 v[12:13], v[84:85], s[12:13], v[130:131]
	s_delay_alu instid0(VALU_DEP_3) | instskip(SKIP_1) | instid1(VALU_DEP_3)
	v_add_f64_e32 v[128:129], v[128:129], v[16:17]
	v_fma_f64 v[16:17], v[84:85], s[12:13], -v[130:131]
	v_add_f64_e32 v[12:13], v[12:13], v[14:15]
	v_add_f64_e32 v[14:15], v[114:115], v[112:113]
	v_fma_f64 v[112:113], v[64:65], s[20:21], v[60:61]
	v_fma_f64 v[60:61], v[64:65], s[20:21], -v[60:61]
	v_add_f64_e32 v[16:17], v[16:17], v[18:19]
	v_fma_f64 v[18:19], v[86:87], s[12:13], v[132:133]
	s_delay_alu instid0(VALU_DEP_4) | instskip(SKIP_2) | instid1(VALU_DEP_4)
	v_add_f64_e32 v[10:11], v[112:113], v[10:11]
	v_mul_f64_e32 v[112:113], s[26:27], v[6:7]
	v_add_f64_e32 v[60:61], v[60:61], v[62:63]
	v_add_f64_e32 v[18:19], v[18:19], v[128:129]
	s_delay_alu instid0(VALU_DEP_3) | instskip(SKIP_2) | instid1(VALU_DEP_3)
	v_fma_f64 v[6:7], v[66:67], s[20:21], -v[112:113]
	v_fma_f64 v[64:65], v[66:67], s[20:21], v[112:113]
	v_fma_f64 v[66:67], v[74:75], s[18:19], v[88:89]
	v_add_f64_e32 v[6:7], v[6:7], v[8:9]
	v_mul_f64_e32 v[8:9], s[16:17], v[4:5]
	s_delay_alu instid0(VALU_DEP_4) | instskip(SKIP_1) | instid1(VALU_DEP_3)
	v_add_f64_e32 v[62:63], v[64:65], v[94:95]
	v_fma_f64 v[64:65], v[72:73], s[18:19], -v[90:91]
	v_fma_f64 v[4:5], v[68:69], s[12:13], v[8:9]
	v_fma_f64 v[8:9], v[68:69], s[12:13], -v[8:9]
	s_delay_alu instid0(VALU_DEP_2) | instskip(SKIP_1) | instid1(VALU_DEP_3)
	v_add_f64_e32 v[4:5], v[4:5], v[10:11]
	v_mul_f64_e32 v[10:11], s[16:17], v[92:93]
	v_add_f64_e32 v[8:9], v[8:9], v[60:61]
	v_fma_f64 v[60:61], v[84:85], s[30:31], -v[78:79]
	s_delay_alu instid0(VALU_DEP_3) | instskip(SKIP_1) | instid1(VALU_DEP_4)
	v_fma_f64 v[92:93], v[70:71], s[12:13], -v[10:11]
	v_fma_f64 v[10:11], v[70:71], s[12:13], v[10:11]
	v_add_f64_e32 v[8:9], v[64:65], v[8:9]
	s_delay_alu instid0(VALU_DEP_3) | instskip(SKIP_1) | instid1(VALU_DEP_4)
	v_add_f64_e32 v[6:7], v[92:93], v[6:7]
	v_fma_f64 v[92:93], v[72:73], s[18:19], v[90:91]
	v_add_f64_e32 v[10:11], v[10:11], v[62:63]
	v_fma_f64 v[62:63], v[86:87], s[30:31], v[76:77]
	s_delay_alu instid0(VALU_DEP_3) | instskip(SKIP_1) | instid1(VALU_DEP_4)
	v_add_f64_e32 v[4:5], v[92:93], v[4:5]
	v_fma_f64 v[92:93], v[74:75], s[18:19], -v[88:89]
	v_add_f64_e32 v[10:11], v[66:67], v[10:11]
	s_delay_alu instid0(VALU_DEP_2) | instskip(SKIP_2) | instid1(VALU_DEP_2)
	v_add_f64_e32 v[6:7], v[92:93], v[6:7]
	v_fma_f64 v[92:93], v[0:1], s[24:25], v[82:83]
	v_fma_f64 v[0:1], v[0:1], s[24:25], -v[82:83]
	v_add_f64_e32 v[4:5], v[92:93], v[4:5]
	v_fma_f64 v[92:93], v[2:3], s[24:25], -v[80:81]
	v_fma_f64 v[2:3], v[2:3], s[24:25], v[80:81]
	s_delay_alu instid0(VALU_DEP_4) | instskip(SKIP_1) | instid1(VALU_DEP_1)
	v_add_f64_e32 v[0:1], v[0:1], v[8:9]
	v_mul_lo_u16 v8, v28, 13
	v_and_b32_e32 v8, 0xffff, v8
	s_delay_alu instid0(VALU_DEP_1) | instskip(SKIP_4) | instid1(VALU_DEP_3)
	v_lshlrev_b32_e32 v255, 4, v8
	v_add_f64_e32 v[6:7], v[92:93], v[6:7]
	v_fma_f64 v[92:93], v[84:85], s[30:31], v[78:79]
	v_add_f64_e32 v[2:3], v[2:3], v[10:11]
	v_add_f64_e32 v[0:1], v[60:61], v[0:1]
	;; [unrolled: 1-line block ×3, first 2 shown]
	v_fma_f64 v[92:93], v[86:87], s[30:31], -v[76:77]
	s_delay_alu instid0(VALU_DEP_4) | instskip(NEXT) | instid1(VALU_DEP_2)
	v_add_f64_e32 v[2:3], v[62:63], v[2:3]
	v_add_f64_e32 v[6:7], v[92:93], v[6:7]
	ds_store_b128 v255, v[29:32] offset:32
	ds_store_b128 v255, v[96:99] offset:48
	;; [unrolled: 1-line block ×12, first 2 shown]
	ds_store_b128 v255, v[56:59]
	v_and_b32_e32 v0, 0xff, v28
	global_wb scope:SCOPE_SE
	s_wait_dscnt 0x0
	s_barrier_signal -1
	s_barrier_wait -1
	global_inv scope:SCOPE_SE
	v_mul_lo_u16 v0, 0x4f, v0
	s_delay_alu instid0(VALU_DEP_1) | instskip(NEXT) | instid1(VALU_DEP_1)
	v_lshrrev_b16 v29, 10, v0
	v_mul_lo_u16 v0, v29, 13
	s_delay_alu instid0(VALU_DEP_1) | instskip(NEXT) | instid1(VALU_DEP_1)
	v_sub_nc_u16 v0, v28, v0
	v_and_b32_e32 v28, 0xff, v0
	s_delay_alu instid0(VALU_DEP_1) | instskip(NEXT) | instid1(VALU_DEP_1)
	v_mul_u32_u24_e32 v0, 12, v28
	v_lshlrev_b32_e32 v18, 4, v0
	s_clause 0x1
	global_load_b128 v[56:59], v18, s[10:11]
	global_load_b128 v[52:55], v18, s[10:11] offset:16
	ds_load_b128 v[0:3], v35 offset:2704
	ds_load_b128 v[4:7], v35
	s_wait_loadcnt_dscnt 0x101
	v_mul_f64_e32 v[8:9], v[2:3], v[58:59]
	s_delay_alu instid0(VALU_DEP_1) | instskip(SKIP_1) | instid1(VALU_DEP_1)
	v_fma_f64 v[12:13], v[0:1], v[56:57], -v[8:9]
	v_mul_f64_e32 v[0:1], v[0:1], v[58:59]
	v_fma_f64 v[14:15], v[2:3], v[56:57], v[0:1]
	ds_load_b128 v[0:3], v35 offset:5408
	ds_load_b128 v[8:11], v35 offset:8112
	s_clause 0x1
	global_load_b128 v[80:83], v18, s[10:11] offset:32
	global_load_b128 v[68:71], v18, s[10:11] offset:48
	s_wait_loadcnt_dscnt 0x201
	v_mul_f64_e32 v[16:17], v[2:3], v[54:55]
	s_delay_alu instid0(VALU_DEP_1) | instskip(SKIP_1) | instid1(VALU_DEP_1)
	v_fma_f64 v[108:109], v[0:1], v[52:53], -v[16:17]
	v_mul_f64_e32 v[0:1], v[0:1], v[54:55]
	v_fma_f64 v[110:111], v[2:3], v[52:53], v[0:1]
	s_wait_loadcnt_dscnt 0x100
	v_mul_f64_e32 v[0:1], v[10:11], v[82:83]
	s_delay_alu instid0(VALU_DEP_1) | instskip(SKIP_1) | instid1(VALU_DEP_1)
	v_fma_f64 v[112:113], v[8:9], v[80:81], -v[0:1]
	v_mul_f64_e32 v[0:1], v[8:9], v[82:83]
	v_fma_f64 v[114:115], v[10:11], v[80:81], v[0:1]
	ds_load_b128 v[0:3], v35 offset:10816
	ds_load_b128 v[8:11], v35 offset:13520
	s_clause 0x1
	global_load_b128 v[88:91], v18, s[10:11] offset:64
	global_load_b128 v[72:75], v18, s[10:11] offset:80
	s_wait_loadcnt_dscnt 0x201
	v_mul_f64_e32 v[16:17], v[2:3], v[70:71]
	s_delay_alu instid0(VALU_DEP_1) | instskip(SKIP_1) | instid1(VALU_DEP_1)
	v_fma_f64 v[116:117], v[0:1], v[68:69], -v[16:17]
	v_mul_f64_e32 v[0:1], v[0:1], v[70:71]
	v_fma_f64 v[118:119], v[2:3], v[68:69], v[0:1]
	;; [unrolled: 17-line block ×3, first 2 shown]
	s_wait_loadcnt_dscnt 0x100
	v_mul_f64_e32 v[0:1], v[10:11], v[94:95]
	s_delay_alu instid0(VALU_DEP_1) | instskip(SKIP_1) | instid1(VALU_DEP_2)
	v_fma_f64 v[128:129], v[8:9], v[92:93], -v[0:1]
	v_mul_f64_e32 v[0:1], v[8:9], v[94:95]
	v_add_f64_e32 v[217:218], v[124:125], v[128:129]
	s_delay_alu instid0(VALU_DEP_2)
	v_fma_f64 v[130:131], v[10:11], v[92:93], v[0:1]
	ds_load_b128 v[0:3], v35 offset:21632
	ds_load_b128 v[8:11], v35 offset:24336
	s_clause 0x1
	global_load_b128 v[100:103], v18, s[10:11] offset:128
	global_load_b128 v[84:87], v18, s[10:11] offset:144
	v_add_f64_e64 v[221:222], v[124:125], -v[128:129]
	s_wait_loadcnt_dscnt 0x201
	v_mul_f64_e32 v[16:17], v[2:3], v[78:79]
	v_add_f64_e64 v[215:216], v[126:127], -v[130:131]
	v_add_f64_e32 v[223:224], v[126:127], v[130:131]
	s_delay_alu instid0(VALU_DEP_4) | instskip(NEXT) | instid1(VALU_DEP_4)
	v_mul_f64_e32 v[225:226], s[34:35], v[221:222]
	v_fma_f64 v[132:133], v[0:1], v[76:77], -v[16:17]
	v_mul_f64_e32 v[0:1], v[0:1], v[78:79]
	v_mul_f64_e32 v[219:220], s[34:35], v[215:216]
	s_delay_alu instid0(VALU_DEP_2) | instskip(SKIP_2) | instid1(VALU_DEP_1)
	v_fma_f64 v[134:135], v[2:3], v[76:77], v[0:1]
	s_wait_loadcnt_dscnt 0x100
	v_mul_f64_e32 v[0:1], v[10:11], v[102:103]
	v_fma_f64 v[136:137], v[8:9], v[100:101], -v[0:1]
	v_mul_f64_e32 v[0:1], v[8:9], v[102:103]
	s_delay_alu instid0(VALU_DEP_1)
	v_fma_f64 v[138:139], v[10:11], v[100:101], v[0:1]
	ds_load_b128 v[0:3], v35 offset:27040
	ds_load_b128 v[8:11], v35 offset:29744
	s_clause 0x1
	global_load_b128 v[104:107], v18, s[10:11] offset:160
	global_load_b128 v[96:99], v18, s[10:11] offset:176
	s_wait_loadcnt_dscnt 0x201
	v_mul_f64_e32 v[16:17], v[2:3], v[86:87]
	s_delay_alu instid0(VALU_DEP_1) | instskip(SKIP_1) | instid1(VALU_DEP_2)
	v_fma_f64 v[140:141], v[0:1], v[84:85], -v[16:17]
	v_mul_f64_e32 v[0:1], v[0:1], v[86:87]
	v_add_f64_e32 v[193:194], v[112:113], v[140:141]
	s_delay_alu instid0(VALU_DEP_2) | instskip(SKIP_1) | instid1(VALU_DEP_2)
	v_fma_f64 v[142:143], v[2:3], v[84:85], v[0:1]
	v_add_f64_e64 v[211:212], v[112:113], -v[140:141]
	v_add_f64_e64 v[203:204], v[114:115], -v[142:143]
	v_add_f64_e32 v[209:210], v[114:115], v[142:143]
	s_wait_loadcnt_dscnt 0x100
	v_mul_f64_e32 v[0:1], v[10:11], v[106:107]
	s_delay_alu instid0(VALU_DEP_1) | instskip(SKIP_1) | instid1(VALU_DEP_1)
	v_fma_f64 v[144:145], v[8:9], v[104:105], -v[0:1]
	v_mul_f64_e32 v[0:1], v[8:9], v[106:107]
	v_fma_f64 v[146:147], v[10:11], v[104:105], v[0:1]
	ds_load_b128 v[0:3], v35 offset:32448
	global_wb scope:SCOPE_SE
	s_wait_loadcnt_dscnt 0x0
	s_barrier_signal -1
	s_barrier_wait -1
	global_inv scope:SCOPE_SE
	v_mul_f64_e32 v[8:9], v[0:1], v[98:99]
	s_delay_alu instid0(VALU_DEP_1) | instskip(SKIP_1) | instid1(VALU_DEP_2)
	v_fma_f64 v[148:149], v[2:3], v[96:97], v[8:9]
	v_mul_f64_e32 v[2:3], v[2:3], v[98:99]
	v_add_f64_e32 v[156:157], v[14:15], v[148:149]
	s_delay_alu instid0(VALU_DEP_2) | instskip(SKIP_1) | instid1(VALU_DEP_2)
	v_fma_f64 v[150:151], v[0:1], v[96:97], -v[2:3]
	v_add_f64_e64 v[0:1], v[14:15], -v[148:149]
	v_add_f64_e32 v[20:21], v[12:13], v[150:151]
	s_delay_alu instid0(VALU_DEP_2)
	v_mul_f64_e32 v[2:3], s[28:29], v[0:1]
	v_mul_f64_e32 v[8:9], s[26:27], v[0:1]
	;; [unrolled: 1-line block ×6, first 2 shown]
	v_fma_f64 v[22:23], v[20:21], s[22:23], -v[2:3]
	v_fma_f64 v[2:3], v[20:21], s[22:23], v[2:3]
	v_fma_f64 v[24:25], v[20:21], s[20:21], -v[8:9]
	v_fma_f64 v[8:9], v[20:21], s[20:21], v[8:9]
	;; [unrolled: 2-line block ×6, first 2 shown]
	v_add_f64_e64 v[0:1], v[12:13], -v[150:151]
	v_add_f64_e32 v[2:3], v[4:5], v[2:3]
	v_add_f64_e32 v[207:208], v[4:5], v[24:25]
	;; [unrolled: 1-line block ×8, first 2 shown]
	v_mul_f64_e32 v[24:25], s[16:17], v[203:204]
	v_mul_f64_e32 v[26:27], s[16:17], v[211:212]
	;; [unrolled: 1-line block ×8, first 2 shown]
	v_fma_f64 v[158:159], v[156:157], s[22:23], v[62:63]
	v_fma_f64 v[160:161], v[156:157], s[20:21], v[64:65]
	v_fma_f64 v[162:163], v[156:157], s[12:13], v[66:67]
	v_fma_f64 v[166:167], v[156:157], s[18:19], -v[152:153]
	v_fma_f64 v[168:169], v[156:157], s[24:25], v[154:155]
	v_fma_f64 v[180:181], v[156:157], s[30:31], v[0:1]
	v_fma_f64 v[182:183], v[156:157], s[30:31], -v[0:1]
	v_fma_f64 v[170:171], v[156:157], s[24:25], -v[154:155]
	v_add_f64_e32 v[154:155], v[6:7], v[14:15]
	v_fma_f64 v[62:63], v[156:157], s[22:23], -v[62:63]
	v_fma_f64 v[64:65], v[156:157], s[20:21], -v[64:65]
	;; [unrolled: 1-line block ×3, first 2 shown]
	v_fma_f64 v[164:165], v[156:157], s[18:19], v[152:153]
	v_add_f64_e32 v[152:153], v[4:5], v[12:13]
	v_add_f64_e32 v[12:13], v[4:5], v[22:23]
	;; [unrolled: 1-line block ×10, first 2 shown]
	v_add_f64_e64 v[181:182], v[110:111], -v[146:147]
	v_add_f64_e32 v[166:167], v[4:5], v[18:19]
	v_add_f64_e32 v[162:163], v[4:5], v[60:61]
	;; [unrolled: 1-line block ×8, first 2 shown]
	v_add_f64_e64 v[183:184], v[108:109], -v[144:145]
	v_add_f64_e32 v[170:171], v[110:111], v[146:147]
	v_mul_f64_e32 v[4:5], s[26:27], v[181:182]
	s_delay_alu instid0(VALU_DEP_1) | instskip(SKIP_1) | instid1(VALU_DEP_2)
	v_fma_f64 v[6:7], v[168:169], s[20:21], -v[4:5]
	v_fma_f64 v[4:5], v[168:169], s[20:21], v[4:5]
	v_add_f64_e32 v[8:9], v[6:7], v[12:13]
	v_mul_f64_e32 v[6:7], s[26:27], v[183:184]
	v_fma_f64 v[12:13], v[193:194], s[12:13], -v[24:25]
	s_delay_alu instid0(VALU_DEP_4) | instskip(NEXT) | instid1(VALU_DEP_3)
	v_add_f64_e32 v[2:3], v[4:5], v[2:3]
	v_fma_f64 v[10:11], v[170:171], s[20:21], v[6:7]
	v_fma_f64 v[4:5], v[170:171], s[20:21], -v[6:7]
	v_fma_f64 v[6:7], v[223:224], s[30:31], -v[225:226]
	s_delay_alu instid0(VALU_DEP_3)
	v_add_f64_e32 v[10:11], v[10:11], v[14:15]
	v_add_f64_e32 v[14:15], v[12:13], v[8:9]
	v_fma_f64 v[8:9], v[209:210], s[12:13], v[26:27]
	v_add_f64_e64 v[12:13], v[118:119], -v[138:139]
	v_add_f64_e32 v[0:1], v[4:5], v[0:1]
	v_fma_f64 v[4:5], v[193:194], s[12:13], v[24:25]
	v_mul_f64_e32 v[24:25], s[34:35], v[203:204]
	v_add_f64_e32 v[16:17], v[8:9], v[10:11]
	v_add_f64_e32 v[8:9], v[116:117], v[136:137]
	v_mul_f64_e32 v[30:31], s[2:3], v[12:13]
	v_add_f64_e32 v[2:3], v[4:5], v[2:3]
	v_fma_f64 v[4:5], v[209:210], s[12:13], -v[26:27]
	v_fma_f64 v[26:27], v[193:194], s[30:31], -v[24:25]
	v_fma_f64 v[24:25], v[193:194], s[30:31], v[24:25]
	v_fma_f64 v[10:11], v[8:9], s[18:19], -v[30:31]
	s_delay_alu instid0(VALU_DEP_4) | instskip(SKIP_1) | instid1(VALU_DEP_3)
	v_add_f64_e32 v[0:1], v[4:5], v[0:1]
	v_fma_f64 v[4:5], v[8:9], s[18:19], v[30:31]
	v_add_f64_e32 v[18:19], v[10:11], v[14:15]
	v_add_f64_e64 v[14:15], v[116:117], -v[136:137]
	v_add_f64_e32 v[10:11], v[118:119], v[138:139]
	s_delay_alu instid0(VALU_DEP_4) | instskip(NEXT) | instid1(VALU_DEP_3)
	v_add_f64_e32 v[2:3], v[4:5], v[2:3]
	v_mul_f64_e32 v[32:33], s[2:3], v[14:15]
	s_delay_alu instid0(VALU_DEP_1) | instskip(SKIP_1) | instid1(VALU_DEP_2)
	v_fma_f64 v[20:21], v[10:11], s[18:19], v[32:33]
	v_fma_f64 v[4:5], v[10:11], s[18:19], -v[32:33]
	v_add_f64_e32 v[60:61], v[20:21], v[16:17]
	v_add_f64_e64 v[20:21], v[122:123], -v[134:135]
	v_add_f64_e32 v[16:17], v[120:121], v[132:133]
	s_delay_alu instid0(VALU_DEP_4) | instskip(NEXT) | instid1(VALU_DEP_3)
	v_add_f64_e32 v[0:1], v[4:5], v[0:1]
	v_mul_f64_e32 v[64:65], s[14:15], v[20:21]
	s_delay_alu instid0(VALU_DEP_1) | instskip(SKIP_1) | instid1(VALU_DEP_2)
	v_fma_f64 v[22:23], v[16:17], s[24:25], -v[64:65]
	v_fma_f64 v[4:5], v[16:17], s[24:25], v[64:65]
	v_add_f64_e32 v[62:63], v[22:23], v[18:19]
	v_add_f64_e64 v[22:23], v[120:121], -v[132:133]
	v_add_f64_e32 v[18:19], v[122:123], v[134:135]
	s_delay_alu instid0(VALU_DEP_4) | instskip(NEXT) | instid1(VALU_DEP_3)
	v_add_f64_e32 v[2:3], v[4:5], v[2:3]
	v_mul_f64_e32 v[66:67], s[14:15], v[22:23]
	s_delay_alu instid0(VALU_DEP_1) | instskip(SKIP_1) | instid1(VALU_DEP_2)
	v_fma_f64 v[4:5], v[18:19], s[24:25], -v[66:67]
	v_fma_f64 v[213:214], v[18:19], s[24:25], v[66:67]
	v_add_f64_e32 v[0:1], v[4:5], v[0:1]
	v_fma_f64 v[4:5], v[217:218], s[30:31], v[219:220]
	s_delay_alu instid0(VALU_DEP_3) | instskip(SKIP_1) | instid1(VALU_DEP_4)
	v_add_f64_e32 v[213:214], v[213:214], v[60:61]
	v_fma_f64 v[60:61], v[217:218], s[30:31], -v[219:220]
	v_add_f64_e32 v[66:67], v[6:7], v[0:1]
	s_delay_alu instid0(VALU_DEP_4) | instskip(SKIP_4) | instid1(VALU_DEP_4)
	v_add_f64_e32 v[64:65], v[4:5], v[2:3]
	v_mul_f64_e32 v[4:5], s[2:3], v[181:182]
	v_mul_f64_e32 v[6:7], s[2:3], v[183:184]
	v_add_f64_e32 v[60:61], v[60:61], v[62:63]
	v_fma_f64 v[62:63], v[223:224], s[30:31], v[225:226]
	v_fma_f64 v[0:1], v[168:169], s[18:19], -v[4:5]
	s_delay_alu instid0(VALU_DEP_4)
	v_fma_f64 v[2:3], v[170:171], s[18:19], v[6:7]
	v_fma_f64 v[4:5], v[168:169], s[18:19], v[4:5]
	v_fma_f64 v[6:7], v[170:171], s[18:19], -v[6:7]
	v_add_f64_e32 v[62:63], v[62:63], v[213:214]
	v_add_f64_e32 v[0:1], v[0:1], v[207:208]
	;; [unrolled: 1-line block ×5, first 2 shown]
	s_delay_alu instid0(VALU_DEP_4) | instskip(SKIP_1) | instid1(VALU_DEP_4)
	v_add_f64_e32 v[0:1], v[26:27], v[0:1]
	v_mul_f64_e32 v[26:27], s[34:35], v[211:212]
	v_add_f64_e32 v[4:5], v[24:25], v[4:5]
	s_delay_alu instid0(VALU_DEP_2) | instskip(SKIP_1) | instid1(VALU_DEP_2)
	v_fma_f64 v[30:31], v[209:210], s[30:31], v[26:27]
	v_fma_f64 v[24:25], v[209:210], s[30:31], -v[26:27]
	v_add_f64_e32 v[2:3], v[30:31], v[2:3]
	v_mul_f64_e32 v[30:31], s[40:41], v[12:13]
	s_delay_alu instid0(VALU_DEP_3) | instskip(NEXT) | instid1(VALU_DEP_2)
	v_add_f64_e32 v[6:7], v[24:25], v[6:7]
	v_fma_f64 v[32:33], v[8:9], s[24:25], -v[30:31]
	v_fma_f64 v[24:25], v[8:9], s[24:25], v[30:31]
	v_mul_f64_e32 v[30:31], s[34:35], v[181:182]
	s_delay_alu instid0(VALU_DEP_3) | instskip(SKIP_1) | instid1(VALU_DEP_4)
	v_add_f64_e32 v[0:1], v[32:33], v[0:1]
	v_mul_f64_e32 v[32:33], s[40:41], v[14:15]
	v_add_f64_e32 v[4:5], v[24:25], v[4:5]
	s_delay_alu instid0(VALU_DEP_2) | instskip(SKIP_2) | instid1(VALU_DEP_3)
	v_fma_f64 v[205:206], v[10:11], s[24:25], v[32:33]
	v_fma_f64 v[24:25], v[10:11], s[24:25], -v[32:33]
	v_mul_f64_e32 v[32:33], s[34:35], v[183:184]
	v_add_f64_e32 v[2:3], v[205:206], v[2:3]
	v_mul_f64_e32 v[205:206], s[36:37], v[20:21]
	s_delay_alu instid0(VALU_DEP_4) | instskip(NEXT) | instid1(VALU_DEP_2)
	v_add_f64_e32 v[6:7], v[24:25], v[6:7]
	v_fma_f64 v[207:208], v[16:17], s[12:13], -v[205:206]
	v_fma_f64 v[24:25], v[16:17], s[12:13], v[205:206]
	s_delay_alu instid0(VALU_DEP_2) | instskip(SKIP_1) | instid1(VALU_DEP_3)
	v_add_f64_e32 v[0:1], v[207:208], v[0:1]
	v_mul_f64_e32 v[207:208], s[36:37], v[22:23]
	v_add_f64_e32 v[4:5], v[24:25], v[4:5]
	s_delay_alu instid0(VALU_DEP_2) | instskip(SKIP_1) | instid1(VALU_DEP_2)
	v_fma_f64 v[213:214], v[18:19], s[12:13], v[207:208]
	v_fma_f64 v[24:25], v[18:19], s[12:13], -v[207:208]
	v_add_f64_e32 v[2:3], v[213:214], v[2:3]
	v_mul_f64_e32 v[213:214], s[38:39], v[215:216]
	s_delay_alu instid0(VALU_DEP_3) | instskip(NEXT) | instid1(VALU_DEP_2)
	v_add_f64_e32 v[6:7], v[24:25], v[6:7]
	v_fma_f64 v[219:220], v[217:218], s[22:23], -v[213:214]
	v_fma_f64 v[24:25], v[217:218], s[22:23], v[213:214]
	s_delay_alu instid0(VALU_DEP_2) | instskip(SKIP_1) | instid1(VALU_DEP_3)
	v_add_f64_e32 v[0:1], v[219:220], v[0:1]
	v_mul_f64_e32 v[219:220], s[38:39], v[221:222]
	v_add_f64_e32 v[4:5], v[24:25], v[4:5]
	v_fma_f64 v[24:25], v[168:169], s[30:31], -v[30:31]
	v_fma_f64 v[30:31], v[168:169], s[30:31], v[30:31]
	s_delay_alu instid0(VALU_DEP_4) | instskip(SKIP_1) | instid1(VALU_DEP_4)
	v_fma_f64 v[26:27], v[223:224], s[22:23], -v[219:220]
	v_fma_f64 v[225:226], v[223:224], s[22:23], v[219:220]
	v_add_f64_e32 v[24:25], v[24:25], v[197:198]
	s_delay_alu instid0(VALU_DEP_4) | instskip(NEXT) | instid1(VALU_DEP_4)
	v_add_f64_e32 v[30:31], v[30:31], v[191:192]
	v_add_f64_e32 v[6:7], v[26:27], v[6:7]
	v_fma_f64 v[26:27], v[170:171], s[30:31], v[32:33]
	v_fma_f64 v[32:33], v[170:171], s[30:31], -v[32:33]
	v_add_f64_e32 v[2:3], v[225:226], v[2:3]
	s_delay_alu instid0(VALU_DEP_3) | instskip(SKIP_1) | instid1(VALU_DEP_4)
	v_add_f64_e32 v[26:27], v[26:27], v[195:196]
	v_mul_f64_e32 v[195:196], s[42:43], v[203:204]
	v_add_f64_e32 v[32:33], v[32:33], v[189:190]
	s_delay_alu instid0(VALU_DEP_2) | instskip(SKIP_1) | instid1(VALU_DEP_2)
	v_fma_f64 v[197:198], v[193:194], s[18:19], -v[195:196]
	v_fma_f64 v[189:190], v[193:194], s[18:19], v[195:196]
	v_add_f64_e32 v[24:25], v[197:198], v[24:25]
	v_mul_f64_e32 v[197:198], s[42:43], v[211:212]
	s_delay_alu instid0(VALU_DEP_3) | instskip(NEXT) | instid1(VALU_DEP_2)
	v_add_f64_e32 v[30:31], v[189:190], v[30:31]
	v_fma_f64 v[199:200], v[209:210], s[18:19], v[197:198]
	v_fma_f64 v[189:190], v[209:210], s[18:19], -v[197:198]
	s_delay_alu instid0(VALU_DEP_2) | instskip(SKIP_1) | instid1(VALU_DEP_3)
	v_add_f64_e32 v[26:27], v[199:200], v[26:27]
	v_mul_f64_e32 v[199:200], s[38:39], v[12:13]
	v_add_f64_e32 v[32:33], v[189:190], v[32:33]
	s_delay_alu instid0(VALU_DEP_2) | instskip(SKIP_1) | instid1(VALU_DEP_2)
	v_fma_f64 v[201:202], v[8:9], s[22:23], -v[199:200]
	v_fma_f64 v[189:190], v[8:9], s[22:23], v[199:200]
	v_add_f64_e32 v[24:25], v[201:202], v[24:25]
	v_mul_f64_e32 v[201:202], s[38:39], v[14:15]
	s_delay_alu instid0(VALU_DEP_3) | instskip(NEXT) | instid1(VALU_DEP_2)
	v_add_f64_e32 v[30:31], v[189:190], v[30:31]
	v_fma_f64 v[205:206], v[10:11], s[22:23], v[201:202]
	v_fma_f64 v[189:190], v[10:11], s[22:23], -v[201:202]
	s_delay_alu instid0(VALU_DEP_2) | instskip(SKIP_1) | instid1(VALU_DEP_3)
	;; [unrolled: 13-line block ×3, first 2 shown]
	v_add_f64_e32 v[26:27], v[213:214], v[26:27]
	v_mul_f64_e32 v[213:214], s[14:15], v[215:216]
	v_add_f64_e32 v[32:33], v[189:190], v[32:33]
	s_delay_alu instid0(VALU_DEP_2) | instskip(SKIP_1) | instid1(VALU_DEP_2)
	v_fma_f64 v[219:220], v[217:218], s[24:25], -v[213:214]
	v_fma_f64 v[189:190], v[217:218], s[24:25], v[213:214]
	v_add_f64_e32 v[24:25], v[219:220], v[24:25]
	v_mul_f64_e32 v[219:220], s[14:15], v[221:222]
	s_delay_alu instid0(VALU_DEP_3) | instskip(SKIP_1) | instid1(VALU_DEP_3)
	v_add_f64_e32 v[30:31], v[189:190], v[30:31]
	v_mul_f64_e32 v[189:190], s[40:41], v[181:182]
	v_fma_f64 v[191:192], v[223:224], s[24:25], -v[219:220]
	v_fma_f64 v[225:226], v[223:224], s[24:25], v[219:220]
	v_mul_f64_e32 v[219:220], s[44:45], v[215:216]
	s_delay_alu instid0(VALU_DEP_3) | instskip(SKIP_4) | instid1(VALU_DEP_4)
	v_add_f64_e32 v[32:33], v[191:192], v[32:33]
	v_fma_f64 v[191:192], v[168:169], s[24:25], -v[189:190]
	v_fma_f64 v[189:190], v[168:169], s[24:25], v[189:190]
	v_add_f64_e32 v[26:27], v[225:226], v[26:27]
	v_mul_f64_e32 v[225:226], s[44:45], v[221:222]
	v_add_f64_e32 v[187:188], v[191:192], v[187:188]
	v_mul_f64_e32 v[191:192], s[40:41], v[183:184]
	v_add_f64_e32 v[178:179], v[189:190], v[178:179]
	s_delay_alu instid0(VALU_DEP_2) | instskip(SKIP_2) | instid1(VALU_DEP_3)
	v_fma_f64 v[195:196], v[170:171], s[24:25], v[191:192]
	v_fma_f64 v[189:190], v[170:171], s[24:25], -v[191:192]
	v_fma_f64 v[191:192], v[223:224], s[20:21], -v[225:226]
	v_add_f64_e32 v[185:186], v[195:196], v[185:186]
	v_mul_f64_e32 v[195:196], s[38:39], v[203:204]
	s_delay_alu instid0(VALU_DEP_4) | instskip(NEXT) | instid1(VALU_DEP_2)
	v_add_f64_e32 v[176:177], v[189:190], v[176:177]
	v_fma_f64 v[197:198], v[193:194], s[22:23], -v[195:196]
	v_fma_f64 v[189:190], v[193:194], s[22:23], v[195:196]
	s_delay_alu instid0(VALU_DEP_2) | instskip(SKIP_1) | instid1(VALU_DEP_3)
	v_add_f64_e32 v[187:188], v[197:198], v[187:188]
	v_mul_f64_e32 v[197:198], s[38:39], v[211:212]
	v_add_f64_e32 v[178:179], v[189:190], v[178:179]
	s_delay_alu instid0(VALU_DEP_2) | instskip(SKIP_1) | instid1(VALU_DEP_2)
	v_fma_f64 v[199:200], v[209:210], s[22:23], v[197:198]
	v_fma_f64 v[189:190], v[209:210], s[22:23], -v[197:198]
	v_add_f64_e32 v[185:186], v[199:200], v[185:186]
	v_mul_f64_e32 v[199:200], s[16:17], v[12:13]
	s_delay_alu instid0(VALU_DEP_3) | instskip(NEXT) | instid1(VALU_DEP_2)
	v_add_f64_e32 v[176:177], v[189:190], v[176:177]
	v_fma_f64 v[201:202], v[8:9], s[12:13], -v[199:200]
	v_fma_f64 v[189:190], v[8:9], s[12:13], v[199:200]
	s_delay_alu instid0(VALU_DEP_2) | instskip(SKIP_1) | instid1(VALU_DEP_3)
	v_add_f64_e32 v[187:188], v[201:202], v[187:188]
	v_mul_f64_e32 v[201:202], s[16:17], v[14:15]
	v_add_f64_e32 v[178:179], v[189:190], v[178:179]
	s_delay_alu instid0(VALU_DEP_2) | instskip(SKIP_1) | instid1(VALU_DEP_2)
	v_fma_f64 v[205:206], v[10:11], s[12:13], v[201:202]
	v_fma_f64 v[189:190], v[10:11], s[12:13], -v[201:202]
	v_add_f64_e32 v[185:186], v[205:206], v[185:186]
	v_mul_f64_e32 v[205:206], s[46:47], v[20:21]
	s_delay_alu instid0(VALU_DEP_3) | instskip(NEXT) | instid1(VALU_DEP_2)
	v_add_f64_e32 v[176:177], v[189:190], v[176:177]
	v_fma_f64 v[207:208], v[16:17], s[30:31], -v[205:206]
	v_fma_f64 v[189:190], v[16:17], s[30:31], v[205:206]
	s_delay_alu instid0(VALU_DEP_2) | instskip(SKIP_1) | instid1(VALU_DEP_3)
	v_add_f64_e32 v[187:188], v[207:208], v[187:188]
	v_mul_f64_e32 v[207:208], s[46:47], v[22:23]
	v_add_f64_e32 v[178:179], v[189:190], v[178:179]
	s_delay_alu instid0(VALU_DEP_2) | instskip(SKIP_1) | instid1(VALU_DEP_2)
	v_fma_f64 v[189:190], v[18:19], s[30:31], -v[207:208]
	v_fma_f64 v[213:214], v[18:19], s[30:31], v[207:208]
	v_add_f64_e32 v[189:190], v[189:190], v[176:177]
	v_fma_f64 v[176:177], v[217:218], s[20:21], v[219:220]
	s_delay_alu instid0(VALU_DEP_3) | instskip(SKIP_2) | instid1(VALU_DEP_4)
	v_add_f64_e32 v[213:214], v[213:214], v[185:186]
	v_fma_f64 v[185:186], v[217:218], s[20:21], -v[219:220]
	v_mul_f64_e32 v[219:220], s[2:3], v[215:216]
	v_add_f64_e32 v[176:177], v[176:177], v[178:179]
	v_add_f64_e32 v[178:179], v[191:192], v[189:190]
	v_mul_f64_e32 v[189:190], s[36:37], v[181:182]
	v_add_f64_e32 v[185:186], v[185:186], v[187:188]
	v_fma_f64 v[187:188], v[223:224], s[20:21], v[225:226]
	v_mul_f64_e32 v[225:226], s[2:3], v[221:222]
	v_mul_f64_e32 v[180:181], s[38:39], v[181:182]
	v_fma_f64 v[191:192], v[168:169], s[12:13], -v[189:190]
	v_fma_f64 v[189:190], v[168:169], s[12:13], v[189:190]
	v_add_f64_e32 v[187:188], v[187:188], v[213:214]
	s_delay_alu instid0(VALU_DEP_3) | instskip(SKIP_1) | instid1(VALU_DEP_4)
	v_add_f64_e32 v[174:175], v[191:192], v[174:175]
	v_mul_f64_e32 v[191:192], s[36:37], v[183:184]
	v_add_f64_e32 v[166:167], v[189:190], v[166:167]
	v_mul_f64_e32 v[182:183], s[38:39], v[183:184]
	s_delay_alu instid0(VALU_DEP_3) | instskip(SKIP_2) | instid1(VALU_DEP_3)
	v_fma_f64 v[195:196], v[170:171], s[12:13], v[191:192]
	v_fma_f64 v[189:190], v[170:171], s[12:13], -v[191:192]
	v_fma_f64 v[191:192], v[223:224], s[18:19], -v[225:226]
	v_add_f64_e32 v[172:173], v[195:196], v[172:173]
	v_mul_f64_e32 v[195:196], s[26:27], v[203:204]
	s_delay_alu instid0(VALU_DEP_4) | instskip(NEXT) | instid1(VALU_DEP_2)
	v_add_f64_e32 v[164:165], v[189:190], v[164:165]
	v_fma_f64 v[197:198], v[193:194], s[20:21], -v[195:196]
	v_fma_f64 v[189:190], v[193:194], s[20:21], v[195:196]
	s_delay_alu instid0(VALU_DEP_2) | instskip(SKIP_1) | instid1(VALU_DEP_3)
	v_add_f64_e32 v[174:175], v[197:198], v[174:175]
	v_mul_f64_e32 v[197:198], s[26:27], v[211:212]
	v_add_f64_e32 v[166:167], v[189:190], v[166:167]
	s_delay_alu instid0(VALU_DEP_2) | instskip(SKIP_2) | instid1(VALU_DEP_3)
	v_fma_f64 v[199:200], v[209:210], s[20:21], v[197:198]
	v_fma_f64 v[189:190], v[209:210], s[20:21], -v[197:198]
	v_mul_f64_e32 v[197:198], s[36:37], v[221:222]
	v_add_f64_e32 v[172:173], v[199:200], v[172:173]
	v_mul_f64_e32 v[199:200], s[46:47], v[12:13]
	s_delay_alu instid0(VALU_DEP_4) | instskip(NEXT) | instid1(VALU_DEP_2)
	v_add_f64_e32 v[164:165], v[189:190], v[164:165]
	v_fma_f64 v[201:202], v[8:9], s[30:31], -v[199:200]
	v_fma_f64 v[189:190], v[8:9], s[30:31], v[199:200]
	s_delay_alu instid0(VALU_DEP_2) | instskip(SKIP_1) | instid1(VALU_DEP_3)
	v_add_f64_e32 v[174:175], v[201:202], v[174:175]
	v_mul_f64_e32 v[201:202], s[46:47], v[14:15]
	v_add_f64_e32 v[166:167], v[189:190], v[166:167]
	s_delay_alu instid0(VALU_DEP_2) | instskip(SKIP_1) | instid1(VALU_DEP_2)
	v_fma_f64 v[205:206], v[10:11], s[30:31], v[201:202]
	v_fma_f64 v[189:190], v[10:11], s[30:31], -v[201:202]
	v_add_f64_e32 v[172:173], v[205:206], v[172:173]
	v_mul_f64_e32 v[205:206], s[38:39], v[20:21]
	s_delay_alu instid0(VALU_DEP_3) | instskip(SKIP_1) | instid1(VALU_DEP_3)
	v_add_f64_e32 v[164:165], v[189:190], v[164:165]
	v_mul_f64_e32 v[20:21], s[2:3], v[20:21]
	v_fma_f64 v[207:208], v[16:17], s[22:23], -v[205:206]
	v_fma_f64 v[189:190], v[16:17], s[22:23], v[205:206]
	s_delay_alu instid0(VALU_DEP_2) | instskip(SKIP_1) | instid1(VALU_DEP_3)
	v_add_f64_e32 v[174:175], v[207:208], v[174:175]
	v_mul_f64_e32 v[207:208], s[38:39], v[22:23]
	v_add_f64_e32 v[166:167], v[189:190], v[166:167]
	v_mul_f64_e32 v[22:23], s[2:3], v[22:23]
	s_delay_alu instid0(VALU_DEP_3) | instskip(SKIP_1) | instid1(VALU_DEP_2)
	v_fma_f64 v[189:190], v[18:19], s[22:23], -v[207:208]
	v_fma_f64 v[213:214], v[18:19], s[22:23], v[207:208]
	v_add_f64_e32 v[189:190], v[189:190], v[164:165]
	v_fma_f64 v[164:165], v[217:218], s[18:19], v[219:220]
	s_delay_alu instid0(VALU_DEP_3) | instskip(SKIP_1) | instid1(VALU_DEP_3)
	v_add_f64_e32 v[213:214], v[213:214], v[172:173]
	v_fma_f64 v[172:173], v[217:218], s[18:19], -v[219:220]
	v_add_f64_e32 v[164:165], v[164:165], v[166:167]
	v_add_f64_e32 v[166:167], v[191:192], v[189:190]
	v_fma_f64 v[189:190], v[168:169], s[22:23], -v[180:181]
	v_fma_f64 v[168:169], v[168:169], s[22:23], v[180:181]
	v_add_f64_e32 v[172:173], v[172:173], v[174:175]
	v_fma_f64 v[174:175], v[223:224], s[18:19], v[225:226]
	s_delay_alu instid0(VALU_DEP_4) | instskip(SKIP_4) | instid1(VALU_DEP_4)
	v_add_f64_e32 v[162:163], v[189:190], v[162:163]
	v_fma_f64 v[189:190], v[170:171], s[22:23], v[182:183]
	v_fma_f64 v[170:171], v[170:171], s[22:23], -v[182:183]
	v_add_f64_e32 v[156:157], v[168:169], v[156:157]
	v_add_f64_e32 v[174:175], v[174:175], v[213:214]
	;; [unrolled: 1-line block ×3, first 2 shown]
	v_mul_f64_e32 v[189:190], s[14:15], v[203:204]
	v_add_f64_e32 v[158:159], v[170:171], v[158:159]
	s_delay_alu instid0(VALU_DEP_2) | instskip(SKIP_1) | instid1(VALU_DEP_2)
	v_fma_f64 v[191:192], v[193:194], s[24:25], -v[189:190]
	v_fma_f64 v[180:181], v[193:194], s[24:25], v[189:190]
	v_add_f64_e32 v[162:163], v[191:192], v[162:163]
	v_mul_f64_e32 v[191:192], s[14:15], v[211:212]
	s_delay_alu instid0(VALU_DEP_3) | instskip(NEXT) | instid1(VALU_DEP_2)
	v_add_f64_e32 v[156:157], v[180:181], v[156:157]
	v_fma_f64 v[195:196], v[209:210], s[24:25], v[191:192]
	v_fma_f64 v[182:183], v[209:210], s[24:25], -v[191:192]
	s_delay_alu instid0(VALU_DEP_2) | instskip(SKIP_1) | instid1(VALU_DEP_3)
	v_add_f64_e32 v[160:161], v[195:196], v[160:161]
	v_mul_f64_e32 v[195:196], s[44:45], v[12:13]
	v_add_f64_e32 v[158:159], v[182:183], v[158:159]
	s_delay_alu instid0(VALU_DEP_2) | instskip(SKIP_1) | instid1(VALU_DEP_2)
	v_fma_f64 v[12:13], v[8:9], s[20:21], -v[195:196]
	v_fma_f64 v[8:9], v[8:9], s[20:21], v[195:196]
	v_add_f64_e32 v[12:13], v[12:13], v[162:163]
	v_mul_f64_e32 v[162:163], s[44:45], v[14:15]
	s_delay_alu instid0(VALU_DEP_3) | instskip(NEXT) | instid1(VALU_DEP_2)
	v_add_f64_e32 v[8:9], v[8:9], v[156:157]
	v_fma_f64 v[14:15], v[10:11], s[20:21], v[162:163]
	v_fma_f64 v[10:11], v[10:11], s[20:21], -v[162:163]
	s_delay_alu instid0(VALU_DEP_2) | instskip(SKIP_2) | instid1(VALU_DEP_4)
	v_add_f64_e32 v[14:15], v[14:15], v[160:161]
	v_fma_f64 v[160:161], v[16:17], s[18:19], -v[20:21]
	v_fma_f64 v[16:17], v[16:17], s[18:19], v[20:21]
	v_add_f64_e32 v[10:11], v[10:11], v[158:159]
	s_delay_alu instid0(VALU_DEP_3)
	v_add_f64_e32 v[12:13], v[160:161], v[12:13]
	v_fma_f64 v[160:161], v[18:19], s[18:19], v[22:23]
	v_fma_f64 v[18:19], v[18:19], s[18:19], -v[22:23]
	v_add_f64_e32 v[8:9], v[16:17], v[8:9]
	v_add_f64_e32 v[16:17], v[152:153], v[108:109]
	v_fma_f64 v[22:23], v[223:224], s[12:13], -v[197:198]
	v_add_f64_e32 v[14:15], v[160:161], v[14:15]
	v_add_f64_e32 v[10:11], v[18:19], v[10:11]
	;; [unrolled: 1-line block ×4, first 2 shown]
	v_mul_f64_e32 v[160:161], s[36:37], v[215:216]
	s_delay_alu instid0(VALU_DEP_4) | instskip(NEXT) | instid1(VALU_DEP_4)
	v_add_f64_e32 v[10:11], v[22:23], v[10:11]
	v_add_f64_e32 v[18:19], v[18:19], v[114:115]
	s_delay_alu instid0(VALU_DEP_4) | instskip(NEXT) | instid1(VALU_DEP_4)
	v_add_f64_e32 v[16:17], v[16:17], v[116:117]
	v_fma_f64 v[199:200], v[217:218], s[12:13], -v[160:161]
	v_fma_f64 v[20:21], v[217:218], s[12:13], v[160:161]
	s_delay_alu instid0(VALU_DEP_4) | instskip(NEXT) | instid1(VALU_DEP_4)
	v_add_f64_e32 v[18:19], v[18:19], v[118:119]
	v_add_f64_e32 v[16:17], v[16:17], v[120:121]
	s_delay_alu instid0(VALU_DEP_4) | instskip(SKIP_3) | instid1(VALU_DEP_1)
	v_add_f64_e32 v[12:13], v[199:200], v[12:13]
	v_fma_f64 v[199:200], v[223:224], s[12:13], v[197:198]
	v_add_f64_e32 v[8:9], v[20:21], v[8:9]
	v_and_b32_e32 v20, 0xffff, v29
	v_mul_u32_u24_e32 v20, 0xa9, v20
	s_delay_alu instid0(VALU_DEP_1) | instskip(SKIP_3) | instid1(VALU_DEP_3)
	v_add_lshl_u32 v180, v20, v28, 4
	v_add_f64_e32 v[18:19], v[18:19], v[122:123]
	v_add_f64_e32 v[16:17], v[16:17], v[124:125]
	;; [unrolled: 1-line block ×4, first 2 shown]
	s_delay_alu instid0(VALU_DEP_3) | instskip(NEXT) | instid1(VALU_DEP_2)
	v_add_f64_e32 v[16:17], v[16:17], v[128:129]
	v_add_f64_e32 v[18:19], v[18:19], v[130:131]
	s_delay_alu instid0(VALU_DEP_2) | instskip(NEXT) | instid1(VALU_DEP_2)
	v_add_f64_e32 v[16:17], v[16:17], v[132:133]
	v_add_f64_e32 v[18:19], v[18:19], v[134:135]
	s_delay_alu instid0(VALU_DEP_2) | instskip(NEXT) | instid1(VALU_DEP_2)
	;; [unrolled: 3-line block ×5, first 2 shown]
	v_add_f64_e32 v[16:17], v[16:17], v[150:151]
	v_add_f64_e32 v[18:19], v[18:19], v[148:149]
	ds_store_b128 v180, v[0:3] offset:416
	ds_store_b128 v180, v[24:27] offset:624
	;; [unrolled: 1-line block ×12, first 2 shown]
	ds_store_b128 v180, v[16:19]
	v_mad_co_u64_u32 v[0:1], null, 0xc0, v34, s[10:11]
	global_wb scope:SCOPE_SE
	s_wait_dscnt 0x0
	s_barrier_signal -1
	s_barrier_wait -1
	global_inv scope:SCOPE_SE
	s_clause 0x1
	global_load_b128 v[64:67], v[0:1], off offset:2496
	global_load_b128 v[60:63], v[0:1], off offset:2512
	ds_load_b128 v[2:5], v35 offset:2704
	ds_load_b128 v[6:9], v35
	s_add_nc_u64 s[10:11], s[8:9], 0x8950
	s_wait_loadcnt_dscnt 0x101
	v_mul_f64_e32 v[10:11], v[4:5], v[66:67]
	s_delay_alu instid0(VALU_DEP_1) | instskip(SKIP_1) | instid1(VALU_DEP_1)
	v_fma_f64 v[14:15], v[2:3], v[64:65], -v[10:11]
	v_mul_f64_e32 v[2:3], v[2:3], v[66:67]
	v_fma_f64 v[16:17], v[4:5], v[64:65], v[2:3]
	ds_load_b128 v[2:5], v35 offset:5408
	ds_load_b128 v[10:13], v35 offset:8112
	s_clause 0x1
	global_load_b128 v[120:123], v[0:1], off offset:2528
	global_load_b128 v[108:111], v[0:1], off offset:2544
	s_wait_loadcnt_dscnt 0x201
	v_mul_f64_e32 v[18:19], v[4:5], v[62:63]
	v_add_f64_e32 v[211:212], v[8:9], v[16:17]
	s_delay_alu instid0(VALU_DEP_2) | instskip(SKIP_1) | instid1(VALU_DEP_1)
	v_fma_f64 v[164:165], v[2:3], v[60:61], -v[18:19]
	v_mul_f64_e32 v[2:3], v[2:3], v[62:63]
	v_fma_f64 v[166:167], v[4:5], v[60:61], v[2:3]
	s_wait_loadcnt_dscnt 0x100
	v_mul_f64_e32 v[2:3], v[12:13], v[122:123]
	s_delay_alu instid0(VALU_DEP_1) | instskip(SKIP_1) | instid1(VALU_DEP_1)
	v_fma_f64 v[168:169], v[10:11], v[120:121], -v[2:3]
	v_mul_f64_e32 v[2:3], v[10:11], v[122:123]
	v_fma_f64 v[170:171], v[12:13], v[120:121], v[2:3]
	ds_load_b128 v[2:5], v35 offset:10816
	ds_load_b128 v[10:13], v35 offset:13520
	s_clause 0x1
	global_load_b128 v[128:131], v[0:1], off offset:2560
	global_load_b128 v[112:115], v[0:1], off offset:2576
	s_wait_loadcnt_dscnt 0x201
	v_mul_f64_e32 v[18:19], v[4:5], v[110:111]
	s_delay_alu instid0(VALU_DEP_1) | instskip(SKIP_1) | instid1(VALU_DEP_1)
	v_fma_f64 v[172:173], v[2:3], v[108:109], -v[18:19]
	v_mul_f64_e32 v[2:3], v[2:3], v[110:111]
	v_fma_f64 v[174:175], v[4:5], v[108:109], v[2:3]
	s_wait_loadcnt_dscnt 0x100
	v_mul_f64_e32 v[2:3], v[12:13], v[130:131]
	s_delay_alu instid0(VALU_DEP_1) | instskip(SKIP_1) | instid1(VALU_DEP_1)
	v_fma_f64 v[176:177], v[10:11], v[128:129], -v[2:3]
	v_mul_f64_e32 v[2:3], v[10:11], v[130:131]
	v_fma_f64 v[178:179], v[12:13], v[128:129], v[2:3]
	ds_load_b128 v[2:5], v35 offset:16224
	ds_load_b128 v[10:13], v35 offset:18928
	s_clause 0x1
	global_load_b128 v[132:135], v[0:1], off offset:2592
	global_load_b128 v[116:119], v[0:1], off offset:2608
	s_wait_loadcnt_dscnt 0x201
	v_mul_f64_e32 v[18:19], v[4:5], v[114:115]
	s_delay_alu instid0(VALU_DEP_1) | instskip(SKIP_1) | instid1(VALU_DEP_1)
	;; [unrolled: 17-line block ×3, first 2 shown]
	v_fma_f64 v[189:190], v[2:3], v[116:117], -v[18:19]
	v_mul_f64_e32 v[2:3], v[2:3], v[118:119]
	v_fma_f64 v[191:192], v[4:5], v[116:117], v[2:3]
	s_wait_loadcnt_dscnt 0x100
	v_mul_f64_e32 v[2:3], v[12:13], v[142:143]
	s_delay_alu instid0(VALU_DEP_1) | instskip(SKIP_1) | instid1(VALU_DEP_1)
	v_fma_f64 v[193:194], v[10:11], v[140:141], -v[2:3]
	v_mul_f64_e32 v[2:3], v[10:11], v[142:143]
	v_fma_f64 v[195:196], v[12:13], v[140:141], v[2:3]
	ds_load_b128 v[2:5], v35 offset:27040
	ds_load_b128 v[10:13], v35 offset:29744
	s_clause 0x1
	global_load_b128 v[144:147], v[0:1], off offset:2656
	global_load_b128 v[136:139], v[0:1], off offset:2672
	s_wait_loadcnt_dscnt 0x201
	v_mul_f64_e32 v[18:19], v[4:5], v[126:127]
	s_delay_alu instid0(VALU_DEP_1) | instskip(SKIP_1) | instid1(VALU_DEP_2)
	v_fma_f64 v[197:198], v[2:3], v[124:125], -v[18:19]
	v_mul_f64_e32 v[2:3], v[2:3], v[126:127]
	v_add_f64_e32 v[241:242], v[168:169], v[197:198]
	s_delay_alu instid0(VALU_DEP_2) | instskip(SKIP_1) | instid1(VALU_DEP_2)
	v_fma_f64 v[199:200], v[4:5], v[124:125], v[2:3]
	v_add_f64_e64 v[36:37], v[168:169], -v[197:198]
	v_add_f64_e64 v[253:254], v[170:171], -v[199:200]
	v_add_f64_e32 v[243:244], v[170:171], v[199:200]
	s_delay_alu instid0(VALU_DEP_3) | instskip(SKIP_2) | instid1(VALU_DEP_1)
	v_mul_f64_e32 v[38:39], s[16:17], v[36:37]
	s_wait_loadcnt_dscnt 0x100
	v_mul_f64_e32 v[0:1], v[12:13], v[146:147]
	v_fma_f64 v[201:202], v[10:11], v[144:145], -v[0:1]
	v_mul_f64_e32 v[0:1], v[10:11], v[146:147]
	s_delay_alu instid0(VALU_DEP_2) | instskip(NEXT) | instid1(VALU_DEP_2)
	v_add_f64_e64 v[231:232], v[164:165], -v[201:202]
	v_fma_f64 v[203:204], v[12:13], v[144:145], v[0:1]
	ds_load_b128 v[0:3], v35 offset:32448
	s_wait_loadcnt_dscnt 0x0
	v_mul_f64_e32 v[4:5], v[0:1], v[138:139]
	s_delay_alu instid0(VALU_DEP_1) | instskip(SKIP_1) | instid1(VALU_DEP_2)
	v_fma_f64 v[205:206], v[2:3], v[136:137], v[4:5]
	v_mul_f64_e32 v[2:3], v[2:3], v[138:139]
	v_add_f64_e32 v[158:159], v[16:17], v[205:206]
	s_delay_alu instid0(VALU_DEP_2) | instskip(SKIP_1) | instid1(VALU_DEP_2)
	v_fma_f64 v[207:208], v[0:1], v[136:137], -v[2:3]
	v_add_f64_e64 v[0:1], v[16:17], -v[205:206]
	v_add_f64_e32 v[20:21], v[14:15], v[207:208]
	s_delay_alu instid0(VALU_DEP_2)
	v_mul_f64_e32 v[2:3], s[28:29], v[0:1]
	v_mul_f64_e32 v[4:5], s[26:27], v[0:1]
	;; [unrolled: 1-line block ×6, first 2 shown]
	v_fma_f64 v[22:23], v[20:21], s[22:23], -v[2:3]
	v_fma_f64 v[2:3], v[20:21], s[22:23], v[2:3]
	v_fma_f64 v[24:25], v[20:21], s[20:21], -v[4:5]
	v_fma_f64 v[4:5], v[20:21], s[20:21], v[4:5]
	;; [unrolled: 2-line block ×6, first 2 shown]
	v_add_f64_e64 v[20:21], v[14:15], -v[207:208]
	v_add_f64_e32 v[14:15], v[6:7], v[14:15]
	v_add_f64_e32 v[44:45], v[6:7], v[26:27]
	;; [unrolled: 1-line block ×4, first 2 shown]
	v_mul_f64_e32 v[30:31], s[26:27], v[231:232]
	v_add_f64_e32 v[239:240], v[6:7], v[12:13]
	v_add_f64_e32 v[227:228], v[6:7], v[18:19]
	v_add_f64_e32 v[12:13], v[174:175], v[195:196]
	v_add_f64_e64 v[18:19], v[178:179], -v[191:192]
	v_mul_f64_e32 v[28:29], s[28:29], v[20:21]
	v_mul_f64_e32 v[32:33], s[26:27], v[20:21]
	;; [unrolled: 1-line block ×6, first 2 shown]
	scratch_store_b64 off, v[14:15], off offset:216 ; 8-byte Folded Spill
	v_add_f64_e32 v[14:15], v[6:7], v[22:23]
	v_add_f64_e32 v[235:236], v[6:7], v[148:149]
	v_add_f64_e64 v[10:11], v[176:177], -v[189:190]
	v_fma_f64 v[160:161], v[158:159], s[22:23], v[28:29]
	v_fma_f64 v[28:29], v[158:159], s[22:23], -v[28:29]
	v_fma_f64 v[213:214], v[158:159], s[12:13], v[152:153]
	v_fma_f64 v[217:218], v[158:159], s[18:19], v[154:155]
	;; [unrolled: 1-line block ×4, first 2 shown]
	v_fma_f64 v[219:220], v[158:159], s[18:19], -v[154:155]
	v_fma_f64 v[162:163], v[158:159], s[20:21], v[32:33]
	v_fma_f64 v[32:33], v[158:159], s[20:21], -v[32:33]
	v_fma_f64 v[215:216], v[158:159], s[12:13], -v[152:153]
	;; [unrolled: 1-line block ×4, first 2 shown]
	v_add_f64_e32 v[154:155], v[6:7], v[2:3]
	v_add_f64_e32 v[156:157], v[6:7], v[4:5]
	v_mul_f64_e32 v[46:47], s[14:15], v[10:11]
	v_add_f64_e32 v[16:17], v[8:9], v[160:161]
	v_add_f64_e32 v[152:153], v[8:9], v[28:29]
	;; [unrolled: 1-line block ×6, first 2 shown]
	v_add_f64_e64 v[229:230], v[166:167], -v[203:204]
	v_add_f64_e32 v[217:218], v[164:165], v[201:202]
	v_add_f64_e32 v[237:238], v[8:9], v[219:220]
	;; [unrolled: 1-line block ×4, first 2 shown]
	v_mul_f64_e32 v[28:29], s[16:17], v[253:254]
	v_add_f64_e32 v[160:161], v[6:7], v[24:25]
	v_add_f64_e32 v[158:159], v[8:9], v[32:33]
	v_add_f64_e64 v[32:33], v[174:175], -v[195:196]
	v_add_f64_e64 v[24:25], v[172:173], -v[193:194]
	v_add_f64_e32 v[249:250], v[8:9], v[215:216]
	v_add_f64_e32 v[215:216], v[8:9], v[20:21]
	;; [unrolled: 1-line block ×5, first 2 shown]
	v_mul_f64_e32 v[6:7], s[14:15], v[18:19]
	v_mul_f64_e32 v[40:41], s[26:27], v[229:230]
	v_fma_f64 v[2:3], v[219:220], s[20:21], v[30:31]
	v_fma_f64 v[4:5], v[241:242], s[12:13], -v[28:29]
	v_fma_f64 v[28:29], v[241:242], s[12:13], v[28:29]
	v_fma_f64 v[30:31], v[219:220], s[20:21], -v[30:31]
	v_mul_f64_e32 v[20:21], s[2:3], v[32:33]
	v_mul_f64_e32 v[42:43], s[2:3], v[24:25]
	v_fma_f64 v[0:1], v[217:218], s[20:21], -v[40:41]
	v_fma_f64 v[40:41], v[217:218], s[20:21], v[40:41]
	v_add_f64_e32 v[2:3], v[2:3], v[16:17]
	v_add_f64_e32 v[16:17], v[172:173], v[193:194]
	;; [unrolled: 1-line block ×3, first 2 shown]
	v_fma_f64 v[8:9], v[12:13], s[18:19], v[42:43]
	v_add_f64_e32 v[0:1], v[0:1], v[14:15]
	v_add_f64_e32 v[14:15], v[176:177], v[189:190]
	v_add_f64_e32 v[40:41], v[40:41], v[154:155]
	s_delay_alu instid0(VALU_DEP_3) | instskip(SKIP_1) | instid1(VALU_DEP_3)
	v_add_f64_e32 v[0:1], v[4:5], v[0:1]
	v_fma_f64 v[4:5], v[243:244], s[12:13], v[38:39]
	v_add_f64_e32 v[28:29], v[28:29], v[40:41]
	v_fma_f64 v[38:39], v[243:244], s[12:13], -v[38:39]
	s_delay_alu instid0(VALU_DEP_3) | instskip(SKIP_2) | instid1(VALU_DEP_4)
	v_add_f64_e32 v[2:3], v[4:5], v[2:3]
	v_fma_f64 v[4:5], v[16:17], s[18:19], -v[20:21]
	v_fma_f64 v[20:21], v[16:17], s[18:19], v[20:21]
	v_add_f64_e32 v[30:31], v[38:39], v[30:31]
	s_delay_alu instid0(VALU_DEP_4) | instskip(NEXT) | instid1(VALU_DEP_4)
	v_add_f64_e32 v[8:9], v[8:9], v[2:3]
	v_add_f64_e32 v[0:1], v[4:5], v[0:1]
	v_fma_f64 v[2:3], v[14:15], s[24:25], -v[6:7]
	v_add_f64_e32 v[4:5], v[178:179], v[191:192]
	v_add_f64_e32 v[20:21], v[20:21], v[28:29]
	v_fma_f64 v[6:7], v[14:15], s[24:25], v[6:7]
	v_fma_f64 v[28:29], v[12:13], s[18:19], -v[42:43]
	v_add_f64_e32 v[22:23], v[2:3], v[0:1]
	v_fma_f64 v[0:1], v[4:5], s[24:25], v[46:47]
	v_add_f64_e32 v[2:3], v[181:182], v[185:186]
	v_add_f64_e32 v[6:7], v[6:7], v[20:21]
	;; [unrolled: 1-line block ×3, first 2 shown]
	v_fma_f64 v[20:21], v[4:5], s[24:25], -v[46:47]
	v_mul_f64_e32 v[30:31], s[34:35], v[253:254]
	v_add_f64_e32 v[150:151], v[0:1], v[8:9]
	v_add_f64_e64 v[8:9], v[183:184], -v[187:188]
	s_delay_alu instid0(VALU_DEP_4) | instskip(NEXT) | instid1(VALU_DEP_4)
	v_add_f64_e32 v[20:21], v[20:21], v[28:29]
	v_fma_f64 v[38:39], v[241:242], s[30:31], -v[30:31]
	s_delay_alu instid0(VALU_DEP_3) | instskip(NEXT) | instid1(VALU_DEP_1)
	v_mul_f64_e32 v[0:1], s[34:35], v[8:9]
	v_fma_f64 v[26:27], v[2:3], s[30:31], -v[0:1]
	v_fma_f64 v[0:1], v[2:3], s[30:31], v[0:1]
	s_delay_alu instid0(VALU_DEP_2) | instskip(SKIP_2) | instid1(VALU_DEP_4)
	v_add_f64_e32 v[148:149], v[26:27], v[22:23]
	v_add_f64_e64 v[26:27], v[181:182], -v[185:186]
	v_add_f64_e32 v[22:23], v[183:184], v[187:188]
	v_add_f64_e32 v[152:153], v[0:1], v[6:7]
	v_mul_f64_e32 v[0:1], s[2:3], v[229:230]
	s_delay_alu instid0(VALU_DEP_4) | instskip(NEXT) | instid1(VALU_DEP_2)
	v_mul_f64_e32 v[50:51], s[34:35], v[26:27]
	v_fma_f64 v[6:7], v[217:218], s[18:19], -v[0:1]
	v_fma_f64 v[0:1], v[217:218], s[18:19], v[0:1]
	s_delay_alu instid0(VALU_DEP_3) | instskip(SKIP_1) | instid1(VALU_DEP_4)
	v_fma_f64 v[28:29], v[22:23], s[30:31], -v[50:51]
	v_fma_f64 v[209:210], v[22:23], s[30:31], v[50:51]
	v_add_f64_e32 v[6:7], v[6:7], v[160:161]
	s_delay_alu instid0(VALU_DEP_4) | instskip(NEXT) | instid1(VALU_DEP_4)
	v_add_f64_e32 v[0:1], v[0:1], v[156:157]
	v_add_f64_e32 v[154:155], v[28:29], v[20:21]
	v_mul_f64_e32 v[20:21], s[2:3], v[231:232]
	v_add_f64_e32 v[150:151], v[209:210], v[150:151]
	v_add_f64_e32 v[6:7], v[38:39], v[6:7]
	v_mul_f64_e32 v[38:39], s[34:35], v[36:37]
	v_mul_f64_e32 v[209:210], s[38:39], v[8:9]
	v_fma_f64 v[28:29], v[219:220], s[18:19], v[20:21]
	v_fma_f64 v[20:21], v[219:220], s[18:19], -v[20:21]
	s_delay_alu instid0(VALU_DEP_4) | instskip(NEXT) | instid1(VALU_DEP_3)
	v_fma_f64 v[40:41], v[243:244], s[30:31], v[38:39]
	v_add_f64_e32 v[28:29], v[28:29], v[162:163]
	s_delay_alu instid0(VALU_DEP_3) | instskip(NEXT) | instid1(VALU_DEP_2)
	v_add_f64_e32 v[20:21], v[20:21], v[158:159]
	v_add_f64_e32 v[28:29], v[40:41], v[28:29]
	v_mul_f64_e32 v[40:41], s[40:41], v[32:33]
	s_delay_alu instid0(VALU_DEP_1) | instskip(NEXT) | instid1(VALU_DEP_1)
	v_fma_f64 v[42:43], v[16:17], s[24:25], -v[40:41]
	v_add_f64_e32 v[6:7], v[42:43], v[6:7]
	v_mul_f64_e32 v[42:43], s[40:41], v[24:25]
	s_delay_alu instid0(VALU_DEP_1) | instskip(NEXT) | instid1(VALU_DEP_1)
	v_fma_f64 v[46:47], v[12:13], s[24:25], v[42:43]
	v_add_f64_e32 v[28:29], v[46:47], v[28:29]
	v_mul_f64_e32 v[46:47], s[36:37], v[18:19]
	s_delay_alu instid0(VALU_DEP_1) | instskip(NEXT) | instid1(VALU_DEP_1)
	v_fma_f64 v[50:51], v[14:15], s[12:13], -v[46:47]
	v_add_f64_e32 v[6:7], v[50:51], v[6:7]
	v_mul_f64_e32 v[50:51], s[36:37], v[10:11]
	s_delay_alu instid0(VALU_DEP_1) | instskip(NEXT) | instid1(VALU_DEP_1)
	v_fma_f64 v[160:161], v[4:5], s[12:13], v[50:51]
	v_add_f64_e32 v[28:29], v[160:161], v[28:29]
	v_fma_f64 v[160:161], v[2:3], s[22:23], -v[209:210]
	s_delay_alu instid0(VALU_DEP_1) | instskip(SKIP_1) | instid1(VALU_DEP_1)
	v_add_f64_e32 v[160:161], v[160:161], v[6:7]
	v_mul_f64_e32 v[6:7], s[38:39], v[26:27]
	v_fma_f64 v[162:163], v[22:23], s[22:23], v[6:7]
	v_fma_f64 v[6:7], v[22:23], s[22:23], -v[6:7]
	s_delay_alu instid0(VALU_DEP_2) | instskip(SKIP_1) | instid1(VALU_DEP_1)
	v_add_f64_e32 v[162:163], v[162:163], v[28:29]
	v_fma_f64 v[28:29], v[241:242], s[30:31], v[30:31]
	v_add_f64_e32 v[0:1], v[28:29], v[0:1]
	v_fma_f64 v[28:29], v[243:244], s[30:31], -v[38:39]
	v_mul_f64_e32 v[38:39], s[42:43], v[253:254]
	s_delay_alu instid0(VALU_DEP_2) | instskip(SKIP_1) | instid1(VALU_DEP_3)
	v_add_f64_e32 v[20:21], v[28:29], v[20:21]
	v_fma_f64 v[28:29], v[16:17], s[24:25], v[40:41]
	v_fma_f64 v[30:31], v[241:242], s[18:19], -v[38:39]
	v_mul_f64_e32 v[40:41], s[42:43], v[36:37]
	v_fma_f64 v[38:39], v[241:242], s[18:19], v[38:39]
	s_delay_alu instid0(VALU_DEP_4) | instskip(SKIP_2) | instid1(VALU_DEP_2)
	v_add_f64_e32 v[0:1], v[28:29], v[0:1]
	v_fma_f64 v[28:29], v[12:13], s[24:25], -v[42:43]
	v_mul_f64_e32 v[42:43], s[38:39], v[32:33]
	v_add_f64_e32 v[20:21], v[28:29], v[20:21]
	v_fma_f64 v[28:29], v[14:15], s[12:13], v[46:47]
	v_mul_f64_e32 v[46:47], s[26:27], v[18:19]
	s_delay_alu instid0(VALU_DEP_2) | instskip(SKIP_2) | instid1(VALU_DEP_2)
	v_add_f64_e32 v[0:1], v[28:29], v[0:1]
	v_fma_f64 v[28:29], v[4:5], s[12:13], -v[50:51]
	v_mul_f64_e32 v[50:51], s[14:15], v[8:9]
	v_add_f64_e32 v[20:21], v[28:29], v[20:21]
	v_fma_f64 v[28:29], v[2:3], s[22:23], v[209:210]
	s_delay_alu instid0(VALU_DEP_2) | instskip(NEXT) | instid1(VALU_DEP_2)
	v_add_f64_e32 v[158:159], v[6:7], v[20:21]
	v_add_f64_e32 v[156:157], v[28:29], v[0:1]
	v_mul_f64_e32 v[0:1], s[34:35], v[229:230]
	v_mul_f64_e32 v[20:21], s[34:35], v[231:232]
	s_delay_alu instid0(VALU_DEP_2) | instskip(NEXT) | instid1(VALU_DEP_2)
	v_fma_f64 v[6:7], v[217:218], s[30:31], -v[0:1]
	v_fma_f64 v[28:29], v[219:220], s[30:31], v[20:21]
	v_fma_f64 v[0:1], v[217:218], s[30:31], v[0:1]
	v_fma_f64 v[20:21], v[219:220], s[30:31], -v[20:21]
	s_delay_alu instid0(VALU_DEP_4) | instskip(NEXT) | instid1(VALU_DEP_4)
	v_add_f64_e32 v[6:7], v[6:7], v[44:45]
	v_add_f64_e32 v[28:29], v[28:29], v[48:49]
	s_delay_alu instid0(VALU_DEP_4)
	v_add_f64_e32 v[0:1], v[0:1], v[251:252]
	v_mul_f64_e32 v[44:45], s[38:39], v[24:25]
	v_add_f64_e32 v[20:21], v[20:21], v[249:250]
	v_mul_f64_e32 v[48:49], s[26:27], v[10:11]
	v_add_f64_e32 v[6:7], v[30:31], v[6:7]
	v_fma_f64 v[30:31], v[243:244], s[18:19], v[40:41]
	v_add_f64_e32 v[0:1], v[38:39], v[0:1]
	v_fma_f64 v[38:39], v[243:244], s[18:19], -v[40:41]
	v_mul_f64_e32 v[40:41], s[38:39], v[253:254]
	s_delay_alu instid0(VALU_DEP_4) | instskip(SKIP_1) | instid1(VALU_DEP_4)
	v_add_f64_e32 v[28:29], v[30:31], v[28:29]
	v_fma_f64 v[30:31], v[16:17], s[22:23], -v[42:43]
	v_add_f64_e32 v[20:21], v[38:39], v[20:21]
	v_fma_f64 v[38:39], v[16:17], s[22:23], v[42:43]
	v_fma_f64 v[42:43], v[241:242], s[22:23], -v[40:41]
	s_delay_alu instid0(VALU_DEP_4) | instskip(SKIP_1) | instid1(VALU_DEP_4)
	v_add_f64_e32 v[6:7], v[30:31], v[6:7]
	v_fma_f64 v[30:31], v[12:13], s[22:23], v[44:45]
	v_add_f64_e32 v[0:1], v[38:39], v[0:1]
	v_fma_f64 v[38:39], v[12:13], s[22:23], -v[44:45]
	s_delay_alu instid0(VALU_DEP_3) | instskip(SKIP_1) | instid1(VALU_DEP_3)
	v_add_f64_e32 v[28:29], v[30:31], v[28:29]
	v_fma_f64 v[30:31], v[14:15], s[20:21], -v[46:47]
	v_add_f64_e32 v[20:21], v[38:39], v[20:21]
	v_fma_f64 v[38:39], v[14:15], s[20:21], v[46:47]
	s_delay_alu instid0(VALU_DEP_3) | instskip(SKIP_1) | instid1(VALU_DEP_3)
	v_add_f64_e32 v[6:7], v[30:31], v[6:7]
	v_fma_f64 v[30:31], v[4:5], s[20:21], v[48:49]
	v_add_f64_e32 v[0:1], v[38:39], v[0:1]
	v_fma_f64 v[38:39], v[4:5], s[20:21], -v[48:49]
	s_delay_alu instid0(VALU_DEP_3) | instskip(SKIP_1) | instid1(VALU_DEP_3)
	v_add_f64_e32 v[30:31], v[30:31], v[28:29]
	v_fma_f64 v[28:29], v[2:3], s[24:25], -v[50:51]
	v_add_f64_e32 v[20:21], v[38:39], v[20:21]
	v_fma_f64 v[38:39], v[2:3], s[24:25], v[50:51]
	s_delay_alu instid0(VALU_DEP_3) | instskip(SKIP_1) | instid1(VALU_DEP_3)
	v_add_f64_e32 v[28:29], v[28:29], v[6:7]
	v_mul_f64_e32 v[6:7], s[14:15], v[26:27]
	v_add_f64_e32 v[249:250], v[38:39], v[0:1]
	v_mul_f64_e32 v[0:1], s[40:41], v[229:230]
	s_delay_alu instid0(VALU_DEP_3) | instskip(SKIP_1) | instid1(VALU_DEP_2)
	v_fma_f64 v[209:210], v[22:23], s[24:25], v[6:7]
	v_fma_f64 v[6:7], v[22:23], s[24:25], -v[6:7]
	v_add_f64_e32 v[30:31], v[209:210], v[30:31]
	s_delay_alu instid0(VALU_DEP_2) | instskip(SKIP_3) | instid1(VALU_DEP_3)
	v_add_f64_e32 v[251:252], v[6:7], v[20:21]
	v_fma_f64 v[6:7], v[217:218], s[24:25], -v[0:1]
	v_mul_f64_e32 v[20:21], s[40:41], v[231:232]
	v_fma_f64 v[0:1], v[217:218], s[24:25], v[0:1]
	v_add_f64_e32 v[6:7], v[6:7], v[247:248]
	s_delay_alu instid0(VALU_DEP_3) | instskip(NEXT) | instid1(VALU_DEP_3)
	v_fma_f64 v[38:39], v[219:220], s[24:25], v[20:21]
	v_add_f64_e32 v[0:1], v[0:1], v[239:240]
	v_fma_f64 v[20:21], v[219:220], s[24:25], -v[20:21]
	s_delay_alu instid0(VALU_DEP_4) | instskip(SKIP_2) | instid1(VALU_DEP_4)
	v_add_f64_e32 v[6:7], v[42:43], v[6:7]
	v_mul_f64_e32 v[42:43], s[38:39], v[36:37]
	v_add_f64_e32 v[38:39], v[38:39], v[245:246]
	v_add_f64_e32 v[20:21], v[20:21], v[237:238]
	s_delay_alu instid0(VALU_DEP_3) | instskip(NEXT) | instid1(VALU_DEP_1)
	v_fma_f64 v[44:45], v[243:244], s[22:23], v[42:43]
	v_add_f64_e32 v[38:39], v[44:45], v[38:39]
	v_mul_f64_e32 v[44:45], s[16:17], v[32:33]
	s_delay_alu instid0(VALU_DEP_1) | instskip(NEXT) | instid1(VALU_DEP_1)
	v_fma_f64 v[46:47], v[16:17], s[12:13], -v[44:45]
	v_add_f64_e32 v[6:7], v[46:47], v[6:7]
	v_mul_f64_e32 v[46:47], s[16:17], v[24:25]
	s_delay_alu instid0(VALU_DEP_1) | instskip(NEXT) | instid1(VALU_DEP_1)
	v_fma_f64 v[48:49], v[12:13], s[12:13], v[46:47]
	v_add_f64_e32 v[38:39], v[48:49], v[38:39]
	v_mul_f64_e32 v[48:49], s[46:47], v[18:19]
	s_delay_alu instid0(VALU_DEP_1) | instskip(NEXT) | instid1(VALU_DEP_1)
	v_fma_f64 v[50:51], v[14:15], s[30:31], -v[48:49]
	v_add_f64_e32 v[6:7], v[50:51], v[6:7]
	v_mul_f64_e32 v[50:51], s[46:47], v[10:11]
	s_delay_alu instid0(VALU_DEP_1) | instskip(NEXT) | instid1(VALU_DEP_1)
	v_fma_f64 v[209:210], v[4:5], s[30:31], v[50:51]
	v_add_f64_e32 v[38:39], v[209:210], v[38:39]
	v_mul_f64_e32 v[209:210], s[44:45], v[8:9]
	s_delay_alu instid0(VALU_DEP_1) | instskip(NEXT) | instid1(VALU_DEP_1)
	v_fma_f64 v[245:246], v[2:3], s[20:21], -v[209:210]
	v_add_f64_e32 v[245:246], v[245:246], v[6:7]
	v_mul_f64_e32 v[6:7], s[44:45], v[26:27]
	s_delay_alu instid0(VALU_DEP_1) | instskip(SKIP_1) | instid1(VALU_DEP_2)
	v_fma_f64 v[247:248], v[22:23], s[20:21], v[6:7]
	v_fma_f64 v[6:7], v[22:23], s[20:21], -v[6:7]
	v_add_f64_e32 v[247:248], v[247:248], v[38:39]
	v_fma_f64 v[38:39], v[241:242], s[22:23], v[40:41]
	v_mul_f64_e32 v[40:41], s[26:27], v[253:254]
	s_delay_alu instid0(VALU_DEP_2) | instskip(SKIP_1) | instid1(VALU_DEP_3)
	v_add_f64_e32 v[0:1], v[38:39], v[0:1]
	v_fma_f64 v[38:39], v[243:244], s[22:23], -v[42:43]
	v_fma_f64 v[42:43], v[241:242], s[20:21], -v[40:41]
	s_delay_alu instid0(VALU_DEP_2) | instskip(SKIP_1) | instid1(VALU_DEP_1)
	v_add_f64_e32 v[20:21], v[38:39], v[20:21]
	v_fma_f64 v[38:39], v[16:17], s[12:13], v[44:45]
	v_add_f64_e32 v[0:1], v[38:39], v[0:1]
	v_fma_f64 v[38:39], v[12:13], s[12:13], -v[46:47]
	s_delay_alu instid0(VALU_DEP_1) | instskip(SKIP_1) | instid1(VALU_DEP_1)
	v_add_f64_e32 v[20:21], v[38:39], v[20:21]
	v_fma_f64 v[38:39], v[14:15], s[30:31], v[48:49]
	v_add_f64_e32 v[0:1], v[38:39], v[0:1]
	v_fma_f64 v[38:39], v[4:5], s[30:31], -v[50:51]
	s_delay_alu instid0(VALU_DEP_1) | instskip(SKIP_1) | instid1(VALU_DEP_2)
	v_add_f64_e32 v[20:21], v[38:39], v[20:21]
	v_fma_f64 v[38:39], v[2:3], s[20:21], v[209:210]
	v_add_f64_e32 v[239:240], v[6:7], v[20:21]
	s_delay_alu instid0(VALU_DEP_2) | instskip(SKIP_2) | instid1(VALU_DEP_2)
	v_add_f64_e32 v[237:238], v[38:39], v[0:1]
	v_mul_f64_e32 v[0:1], s[36:37], v[229:230]
	v_mul_f64_e32 v[20:21], s[36:37], v[231:232]
	v_fma_f64 v[6:7], v[217:218], s[12:13], -v[0:1]
	s_delay_alu instid0(VALU_DEP_2) | instskip(SKIP_2) | instid1(VALU_DEP_4)
	v_fma_f64 v[38:39], v[219:220], s[12:13], v[20:21]
	v_fma_f64 v[0:1], v[217:218], s[12:13], v[0:1]
	v_fma_f64 v[20:21], v[219:220], s[12:13], -v[20:21]
	v_add_f64_e32 v[6:7], v[6:7], v[235:236]
	s_delay_alu instid0(VALU_DEP_4) | instskip(NEXT) | instid1(VALU_DEP_4)
	v_add_f64_e32 v[38:39], v[38:39], v[233:234]
	v_add_f64_e32 v[0:1], v[0:1], v[227:228]
	s_delay_alu instid0(VALU_DEP_4) | instskip(NEXT) | instid1(VALU_DEP_4)
	v_add_f64_e32 v[20:21], v[20:21], v[225:226]
	v_add_f64_e32 v[6:7], v[42:43], v[6:7]
	v_mul_f64_e32 v[42:43], s[26:27], v[36:37]
	v_mul_f64_e32 v[36:37], s[14:15], v[36:37]
	s_delay_alu instid0(VALU_DEP_2) | instskip(NEXT) | instid1(VALU_DEP_1)
	v_fma_f64 v[44:45], v[243:244], s[20:21], v[42:43]
	v_add_f64_e32 v[38:39], v[44:45], v[38:39]
	v_mul_f64_e32 v[44:45], s[46:47], v[32:33]
	v_mul_f64_e32 v[32:33], s[44:45], v[32:33]
	s_delay_alu instid0(VALU_DEP_2) | instskip(NEXT) | instid1(VALU_DEP_1)
	v_fma_f64 v[46:47], v[16:17], s[30:31], -v[44:45]
	v_add_f64_e32 v[6:7], v[46:47], v[6:7]
	v_mul_f64_e32 v[46:47], s[46:47], v[24:25]
	v_mul_f64_e32 v[24:25], s[44:45], v[24:25]
	s_delay_alu instid0(VALU_DEP_2) | instskip(NEXT) | instid1(VALU_DEP_1)
	v_fma_f64 v[48:49], v[12:13], s[30:31], v[46:47]
	v_add_f64_e32 v[38:39], v[48:49], v[38:39]
	v_mul_f64_e32 v[48:49], s[38:39], v[18:19]
	v_mul_f64_e32 v[18:19], s[2:3], v[18:19]
	s_delay_alu instid0(VALU_DEP_2) | instskip(NEXT) | instid1(VALU_DEP_1)
	v_fma_f64 v[50:51], v[14:15], s[22:23], -v[48:49]
	v_add_f64_e32 v[6:7], v[50:51], v[6:7]
	v_mul_f64_e32 v[50:51], s[38:39], v[10:11]
	s_delay_alu instid0(VALU_DEP_1) | instskip(NEXT) | instid1(VALU_DEP_1)
	v_fma_f64 v[209:210], v[4:5], s[22:23], v[50:51]
	v_add_f64_e32 v[38:39], v[209:210], v[38:39]
	v_mul_f64_e32 v[209:210], s[2:3], v[8:9]
	s_delay_alu instid0(VALU_DEP_1) | instskip(NEXT) | instid1(VALU_DEP_1)
	v_fma_f64 v[233:234], v[2:3], s[18:19], -v[209:210]
	v_add_f64_e32 v[233:234], v[233:234], v[6:7]
	v_mul_f64_e32 v[6:7], s[2:3], v[26:27]
	v_mul_f64_e32 v[26:27], s[36:37], v[26:27]
	s_delay_alu instid0(VALU_DEP_2) | instskip(SKIP_1) | instid1(VALU_DEP_2)
	v_fma_f64 v[235:236], v[22:23], s[18:19], v[6:7]
	v_fma_f64 v[6:7], v[22:23], s[18:19], -v[6:7]
	v_add_f64_e32 v[235:236], v[235:236], v[38:39]
	v_fma_f64 v[38:39], v[241:242], s[20:21], v[40:41]
	v_mul_f64_e32 v[40:41], s[14:15], v[253:254]
	s_delay_alu instid0(VALU_DEP_2) | instskip(SKIP_1) | instid1(VALU_DEP_3)
	v_add_f64_e32 v[0:1], v[38:39], v[0:1]
	v_fma_f64 v[38:39], v[243:244], s[20:21], -v[42:43]
	v_fma_f64 v[42:43], v[241:242], s[24:25], -v[40:41]
	s_delay_alu instid0(VALU_DEP_2) | instskip(SKIP_1) | instid1(VALU_DEP_1)
	v_add_f64_e32 v[20:21], v[38:39], v[20:21]
	v_fma_f64 v[38:39], v[16:17], s[30:31], v[44:45]
	v_add_f64_e32 v[0:1], v[38:39], v[0:1]
	v_fma_f64 v[38:39], v[12:13], s[30:31], -v[46:47]
	s_delay_alu instid0(VALU_DEP_1) | instskip(SKIP_1) | instid1(VALU_DEP_1)
	v_add_f64_e32 v[20:21], v[38:39], v[20:21]
	v_fma_f64 v[38:39], v[14:15], s[22:23], v[48:49]
	v_add_f64_e32 v[0:1], v[38:39], v[0:1]
	v_fma_f64 v[38:39], v[4:5], s[22:23], -v[50:51]
	s_delay_alu instid0(VALU_DEP_1) | instskip(SKIP_1) | instid1(VALU_DEP_2)
	v_add_f64_e32 v[20:21], v[38:39], v[20:21]
	v_fma_f64 v[38:39], v[2:3], s[18:19], v[209:210]
	v_add_f64_e32 v[227:228], v[6:7], v[20:21]
	s_delay_alu instid0(VALU_DEP_2) | instskip(SKIP_2) | instid1(VALU_DEP_2)
	v_add_f64_e32 v[225:226], v[38:39], v[0:1]
	v_mul_f64_e32 v[0:1], s[38:39], v[229:230]
	v_mul_f64_e32 v[20:21], s[38:39], v[231:232]
	v_fma_f64 v[6:7], v[217:218], s[22:23], -v[0:1]
	s_delay_alu instid0(VALU_DEP_2) | instskip(SKIP_1) | instid1(VALU_DEP_3)
	v_fma_f64 v[38:39], v[219:220], s[22:23], v[20:21]
	v_fma_f64 v[0:1], v[217:218], s[22:23], v[0:1]
	v_add_f64_e32 v[6:7], v[6:7], v[223:224]
	s_delay_alu instid0(VALU_DEP_3) | instskip(NEXT) | instid1(VALU_DEP_3)
	v_add_f64_e32 v[38:39], v[38:39], v[221:222]
	v_add_f64_e32 v[0:1], v[0:1], v[213:214]
	s_delay_alu instid0(VALU_DEP_3) | instskip(SKIP_2) | instid1(VALU_DEP_2)
	v_add_f64_e32 v[6:7], v[42:43], v[6:7]
	v_fma_f64 v[42:43], v[243:244], s[24:25], v[36:37]
	v_fma_f64 v[36:37], v[243:244], s[24:25], -v[36:37]
	v_add_f64_e32 v[38:39], v[42:43], v[38:39]
	v_fma_f64 v[42:43], v[16:17], s[20:21], -v[32:33]
	v_fma_f64 v[16:17], v[16:17], s[20:21], v[32:33]
	s_delay_alu instid0(VALU_DEP_2) | instskip(SKIP_2) | instid1(VALU_DEP_2)
	v_add_f64_e32 v[6:7], v[42:43], v[6:7]
	v_fma_f64 v[42:43], v[12:13], s[20:21], v[24:25]
	v_fma_f64 v[12:13], v[12:13], s[20:21], -v[24:25]
	v_add_f64_e32 v[38:39], v[42:43], v[38:39]
	v_fma_f64 v[42:43], v[14:15], s[18:19], -v[18:19]
	v_fma_f64 v[14:15], v[14:15], s[18:19], v[18:19]
	s_delay_alu instid0(VALU_DEP_2) | instskip(SKIP_1) | instid1(VALU_DEP_1)
	v_add_f64_e32 v[6:7], v[42:43], v[6:7]
	v_mul_f64_e32 v[42:43], s[2:3], v[10:11]
	v_fma_f64 v[10:11], v[4:5], s[18:19], v[42:43]
	v_fma_f64 v[4:5], v[4:5], s[18:19], -v[42:43]
	s_delay_alu instid0(VALU_DEP_2) | instskip(SKIP_1) | instid1(VALU_DEP_1)
	v_add_f64_e32 v[10:11], v[10:11], v[38:39]
	v_mul_f64_e32 v[38:39], s[36:37], v[8:9]
	v_fma_f64 v[8:9], v[2:3], s[12:13], -v[38:39]
	v_fma_f64 v[2:3], v[2:3], s[12:13], v[38:39]
	s_delay_alu instid0(VALU_DEP_2) | instskip(SKIP_1) | instid1(VALU_DEP_1)
	v_add_f64_e32 v[8:9], v[8:9], v[6:7]
	v_fma_f64 v[6:7], v[22:23], s[12:13], v[26:27]
	v_add_f64_e32 v[10:11], v[6:7], v[10:11]
	v_fma_f64 v[6:7], v[219:220], s[22:23], -v[20:21]
	v_fma_f64 v[20:21], v[241:242], s[24:25], v[40:41]
	s_delay_alu instid0(VALU_DEP_2) | instskip(NEXT) | instid1(VALU_DEP_2)
	v_add_f64_e32 v[6:7], v[6:7], v[215:216]
	v_add_f64_e32 v[0:1], v[20:21], v[0:1]
	s_delay_alu instid0(VALU_DEP_2) | instskip(NEXT) | instid1(VALU_DEP_2)
	v_add_f64_e32 v[6:7], v[36:37], v[6:7]
	v_add_f64_e32 v[0:1], v[16:17], v[0:1]
	s_delay_alu instid0(VALU_DEP_2) | instskip(SKIP_1) | instid1(VALU_DEP_3)
	v_add_f64_e32 v[6:7], v[12:13], v[6:7]
	v_fma_f64 v[12:13], v[22:23], s[12:13], -v[26:27]
	v_add_f64_e32 v[0:1], v[14:15], v[0:1]
	s_delay_alu instid0(VALU_DEP_3) | instskip(SKIP_1) | instid1(VALU_DEP_3)
	v_add_f64_e32 v[4:5], v[4:5], v[6:7]
	v_add_f64_e32 v[6:7], v[211:212], v[166:167]
	;; [unrolled: 1-line block ×3, first 2 shown]
	s_delay_alu instid0(VALU_DEP_3) | instskip(SKIP_2) | instid1(VALU_DEP_1)
	v_add_f64_e32 v[2:3], v[12:13], v[4:5]
	scratch_load_b64 v[4:5], off, off offset:216 th:TH_LOAD_LU ; 8-byte Folded Reload
	v_add_f64_e32 v[6:7], v[6:7], v[170:171]
	v_add_f64_e32 v[6:7], v[6:7], v[174:175]
	s_delay_alu instid0(VALU_DEP_1) | instskip(NEXT) | instid1(VALU_DEP_1)
	v_add_f64_e32 v[6:7], v[6:7], v[178:179]
	v_add_f64_e32 v[6:7], v[6:7], v[183:184]
	s_delay_alu instid0(VALU_DEP_1) | instskip(NEXT) | instid1(VALU_DEP_1)
	;; [unrolled: 3-line block ×3, first 2 shown]
	v_add_f64_e32 v[6:7], v[6:7], v[195:196]
	v_add_f64_e32 v[6:7], v[6:7], v[199:200]
	s_delay_alu instid0(VALU_DEP_1) | instskip(SKIP_2) | instid1(VALU_DEP_2)
	v_add_f64_e32 v[6:7], v[6:7], v[203:204]
	s_wait_loadcnt 0x0
	v_add_f64_e32 v[4:5], v[4:5], v[164:165]
	v_add_f64_e32 v[6:7], v[6:7], v[205:206]
	s_delay_alu instid0(VALU_DEP_2) | instskip(NEXT) | instid1(VALU_DEP_1)
	v_add_f64_e32 v[4:5], v[4:5], v[168:169]
	v_add_f64_e32 v[4:5], v[4:5], v[172:173]
	s_delay_alu instid0(VALU_DEP_1) | instskip(NEXT) | instid1(VALU_DEP_1)
	v_add_f64_e32 v[4:5], v[4:5], v[176:177]
	v_add_f64_e32 v[4:5], v[4:5], v[181:182]
	s_delay_alu instid0(VALU_DEP_1) | instskip(NEXT) | instid1(VALU_DEP_1)
	;; [unrolled: 3-line block ×4, first 2 shown]
	v_add_f64_e32 v[4:5], v[4:5], v[201:202]
	v_add_f64_e32 v[4:5], v[4:5], v[207:208]
	ds_store_b128 v35, v[160:163] offset:5408
	ds_store_b128 v35, v[28:31] offset:8112
	;; [unrolled: 1-line block ×12, first 2 shown]
	ds_store_b128 v35, v[4:7]
	global_wb scope:SCOPE_SE
	s_wait_storecnt_dscnt 0x0
	s_barrier_signal -1
	s_barrier_wait -1
	global_inv scope:SCOPE_SE
	global_load_b128 v[0:3], v35, s[8:9] offset:35152
	ds_load_b128 v[4:7], v35
	ds_load_b128 v[8:11], v35 offset:2704
	global_load_b128 v[12:15], v35, s[10:11] offset:32448
	ds_load_b128 v[20:23], v35 offset:32448
	s_wait_loadcnt_dscnt 0x102
	v_mul_f64_e32 v[16:17], v[6:7], v[2:3]
	v_mul_f64_e32 v[18:19], v[4:5], v[2:3]
	s_delay_alu instid0(VALU_DEP_2) | instskip(NEXT) | instid1(VALU_DEP_2)
	v_fma_f64 v[2:3], v[4:5], v[0:1], -v[16:17]
	v_fma_f64 v[4:5], v[6:7], v[0:1], v[18:19]
	global_load_b128 v[16:19], v35, s[10:11] offset:2704
	s_wait_loadcnt_dscnt 0x1
	v_mul_f64_e32 v[0:1], v[10:11], v[18:19]
	v_mul_f64_e32 v[18:19], v[8:9], v[18:19]
	s_delay_alu instid0(VALU_DEP_2) | instskip(NEXT) | instid1(VALU_DEP_2)
	v_fma_f64 v[6:7], v[8:9], v[16:17], -v[0:1]
	v_fma_f64 v[8:9], v[10:11], v[16:17], v[18:19]
	s_clause 0x1
	global_load_b128 v[16:19], v35, s[10:11] offset:5408
	global_load_b128 v[24:27], v35, s[10:11] offset:8112
	ds_load_b128 v[28:31], v35 offset:5408
	ds_load_b128 v[148:151], v35 offset:8112
	s_wait_loadcnt_dscnt 0x101
	v_mul_f64_e32 v[0:1], v[30:31], v[18:19]
	v_mul_f64_e32 v[10:11], v[28:29], v[18:19]
	s_delay_alu instid0(VALU_DEP_2) | instskip(NEXT) | instid1(VALU_DEP_2)
	v_fma_f64 v[28:29], v[28:29], v[16:17], -v[0:1]
	v_fma_f64 v[30:31], v[30:31], v[16:17], v[10:11]
	s_wait_loadcnt_dscnt 0x0
	v_mul_f64_e32 v[0:1], v[150:151], v[26:27]
	v_mul_f64_e32 v[10:11], v[148:149], v[26:27]
	s_delay_alu instid0(VALU_DEP_2) | instskip(NEXT) | instid1(VALU_DEP_2)
	v_fma_f64 v[16:17], v[148:149], v[24:25], -v[0:1]
	v_fma_f64 v[18:19], v[150:151], v[24:25], v[10:11]
	s_clause 0x1
	global_load_b128 v[24:27], v35, s[10:11] offset:10816
	global_load_b128 v[148:151], v35, s[10:11] offset:13520
	ds_load_b128 v[152:155], v35 offset:10816
	ds_load_b128 v[156:159], v35 offset:13520
	s_wait_loadcnt_dscnt 0x101
	v_mul_f64_e32 v[0:1], v[154:155], v[26:27]
	v_mul_f64_e32 v[10:11], v[152:153], v[26:27]
	s_delay_alu instid0(VALU_DEP_2) | instskip(NEXT) | instid1(VALU_DEP_2)
	v_fma_f64 v[152:153], v[152:153], v[24:25], -v[0:1]
	v_fma_f64 v[154:155], v[154:155], v[24:25], v[10:11]
	s_wait_loadcnt_dscnt 0x0
	v_mul_f64_e32 v[0:1], v[158:159], v[150:151]
	v_mul_f64_e32 v[10:11], v[156:157], v[150:151]
	s_delay_alu instid0(VALU_DEP_2) | instskip(NEXT) | instid1(VALU_DEP_2)
	v_fma_f64 v[24:25], v[156:157], v[148:149], -v[0:1]
	v_fma_f64 v[26:27], v[158:159], v[148:149], v[10:11]
	s_clause 0x1
	global_load_b128 v[148:151], v35, s[10:11] offset:16224
	global_load_b128 v[156:159], v35, s[10:11] offset:18928
	ds_load_b128 v[160:163], v35 offset:16224
	ds_load_b128 v[164:167], v35 offset:18928
	s_wait_loadcnt_dscnt 0x101
	v_mul_f64_e32 v[0:1], v[162:163], v[150:151]
	v_mul_f64_e32 v[10:11], v[160:161], v[150:151]
	s_delay_alu instid0(VALU_DEP_2) | instskip(NEXT) | instid1(VALU_DEP_2)
	v_fma_f64 v[160:161], v[160:161], v[148:149], -v[0:1]
	v_fma_f64 v[162:163], v[162:163], v[148:149], v[10:11]
	s_wait_loadcnt_dscnt 0x0
	v_mul_f64_e32 v[0:1], v[166:167], v[158:159]
	v_mul_f64_e32 v[10:11], v[164:165], v[158:159]
	s_delay_alu instid0(VALU_DEP_2) | instskip(NEXT) | instid1(VALU_DEP_2)
	v_fma_f64 v[148:149], v[164:165], v[156:157], -v[0:1]
	v_fma_f64 v[150:151], v[166:167], v[156:157], v[10:11]
	s_clause 0x1
	global_load_b128 v[156:159], v35, s[10:11] offset:21632
	global_load_b128 v[164:167], v35, s[10:11] offset:24336
	ds_load_b128 v[168:171], v35 offset:21632
	ds_load_b128 v[172:175], v35 offset:24336
	s_wait_loadcnt_dscnt 0x101
	v_mul_f64_e32 v[0:1], v[170:171], v[158:159]
	v_mul_f64_e32 v[10:11], v[168:169], v[158:159]
	s_delay_alu instid0(VALU_DEP_2) | instskip(NEXT) | instid1(VALU_DEP_2)
	v_fma_f64 v[168:169], v[168:169], v[156:157], -v[0:1]
	v_fma_f64 v[170:171], v[170:171], v[156:157], v[10:11]
	s_wait_loadcnt_dscnt 0x0
	v_mul_f64_e32 v[0:1], v[174:175], v[166:167]
	v_mul_f64_e32 v[10:11], v[172:173], v[166:167]
	s_delay_alu instid0(VALU_DEP_2) | instskip(NEXT) | instid1(VALU_DEP_2)
	v_fma_f64 v[156:157], v[172:173], v[164:165], -v[0:1]
	v_fma_f64 v[158:159], v[174:175], v[164:165], v[10:11]
	s_clause 0x1
	global_load_b128 v[164:167], v35, s[10:11] offset:27040
	global_load_b128 v[172:175], v35, s[10:11] offset:29744
	ds_load_b128 v[176:179], v35 offset:27040
	ds_load_b128 v[181:184], v35 offset:29744
	s_wait_loadcnt_dscnt 0x101
	v_mul_f64_e32 v[0:1], v[178:179], v[166:167]
	v_mul_f64_e32 v[10:11], v[176:177], v[166:167]
	s_delay_alu instid0(VALU_DEP_2) | instskip(SKIP_2) | instid1(VALU_DEP_3)
	v_fma_f64 v[176:177], v[176:177], v[164:165], -v[0:1]
	s_wait_loadcnt_dscnt 0x0
	v_mul_f64_e32 v[0:1], v[183:184], v[174:175]
	v_fma_f64 v[178:179], v[178:179], v[164:165], v[10:11]
	v_mul_f64_e32 v[10:11], v[181:182], v[174:175]
	s_delay_alu instid0(VALU_DEP_3) | instskip(SKIP_2) | instid1(VALU_DEP_4)
	v_fma_f64 v[164:165], v[181:182], v[172:173], -v[0:1]
	v_mul_f64_e32 v[0:1], v[22:23], v[14:15]
	v_mul_f64_e32 v[14:15], v[20:21], v[14:15]
	v_fma_f64 v[166:167], v[183:184], v[172:173], v[10:11]
	s_delay_alu instid0(VALU_DEP_3) | instskip(NEXT) | instid1(VALU_DEP_3)
	v_fma_f64 v[10:11], v[20:21], v[12:13], -v[0:1]
	v_fma_f64 v[12:13], v[22:23], v[12:13], v[14:15]
	ds_store_b128 v35, v[2:5]
	ds_store_b128 v35, v[6:9] offset:2704
	ds_store_b128 v35, v[28:31] offset:5408
	;; [unrolled: 1-line block ×12, first 2 shown]
	global_wb scope:SCOPE_SE
	s_wait_dscnt 0x0
	s_barrier_signal -1
	s_barrier_wait -1
	global_inv scope:SCOPE_SE
	ds_load_b128 v[148:151], v35
	ds_load_b128 v[152:155], v35 offset:2704
	ds_load_b128 v[156:159], v35 offset:5408
	ds_load_b128 v[160:163], v35 offset:8112
	ds_load_b128 v[164:167], v35 offset:10816
	ds_load_b128 v[168:171], v35 offset:13520
	ds_load_b128 v[172:175], v35 offset:16224
	ds_load_b128 v[176:179], v35 offset:18928
	s_wait_dscnt 0x6
	v_add_f64_e32 v[0:1], v[148:149], v[152:153]
	v_add_f64_e32 v[2:3], v[150:151], v[154:155]
	s_wait_dscnt 0x0
	v_add_f64_e32 v[181:182], v[174:175], v[178:179]
	s_delay_alu instid0(VALU_DEP_3) | instskip(NEXT) | instid1(VALU_DEP_3)
	v_add_f64_e32 v[0:1], v[0:1], v[156:157]
	v_add_f64_e32 v[2:3], v[2:3], v[158:159]
	s_delay_alu instid0(VALU_DEP_2) | instskip(NEXT) | instid1(VALU_DEP_2)
	v_add_f64_e32 v[0:1], v[0:1], v[160:161]
	v_add_f64_e32 v[2:3], v[2:3], v[162:163]
	s_delay_alu instid0(VALU_DEP_2) | instskip(NEXT) | instid1(VALU_DEP_2)
	;; [unrolled: 3-line block ×4, first 2 shown]
	v_add_f64_e32 v[4:5], v[0:1], v[172:173]
	v_add_f64_e32 v[6:7], v[2:3], v[174:175]
	v_add_f64_e32 v[0:1], v[172:173], v[176:177]
	v_add_f64_e64 v[2:3], v[172:173], -v[176:177]
	v_add_f64_e64 v[174:175], v[174:175], -v[178:179]
	v_add_f64_e32 v[12:13], v[4:5], v[176:177]
	v_add_f64_e32 v[14:15], v[6:7], v[178:179]
	ds_load_b128 v[4:7], v35 offset:21632
	ds_load_b128 v[8:11], v35 offset:24336
	s_wait_dscnt 0x1
	v_add_f64_e32 v[172:173], v[168:169], v[4:5]
	v_add_f64_e32 v[176:177], v[170:171], v[6:7]
	v_add_f64_e64 v[168:169], v[168:169], -v[4:5]
	v_add_f64_e64 v[178:179], v[170:171], -v[6:7]
	s_wait_dscnt 0x0
	v_add_f64_e32 v[170:171], v[164:165], v[8:9]
	v_add_f64_e32 v[183:184], v[166:167], v[10:11]
	v_add_f64_e64 v[164:165], v[164:165], -v[8:9]
	v_add_f64_e64 v[187:188], v[166:167], -v[10:11]
	v_add_f64_e32 v[4:5], v[12:13], v[4:5]
	v_add_f64_e32 v[6:7], v[14:15], v[6:7]
	s_delay_alu instid0(VALU_DEP_2) | instskip(NEXT) | instid1(VALU_DEP_2)
	v_add_f64_e32 v[16:17], v[4:5], v[8:9]
	v_add_f64_e32 v[18:19], v[6:7], v[10:11]
	ds_load_b128 v[8:11], v35 offset:27040
	ds_load_b128 v[12:15], v35 offset:29744
	s_wait_dscnt 0x1
	v_add_f64_e32 v[166:167], v[160:161], v[8:9]
	v_add_f64_e32 v[4:5], v[162:163], v[10:11]
	v_add_f64_e64 v[160:161], v[160:161], -v[8:9]
	v_add_f64_e64 v[6:7], v[162:163], -v[10:11]
	s_wait_dscnt 0x0
	v_add_f64_e32 v[162:163], v[156:157], v[12:13]
	v_add_f64_e32 v[189:190], v[158:159], v[14:15]
	v_add_f64_e64 v[185:186], v[156:157], -v[12:13]
	v_add_f64_e64 v[191:192], v[158:159], -v[14:15]
	v_add_f64_e32 v[8:9], v[16:17], v[8:9]
	v_add_f64_e32 v[10:11], v[18:19], v[10:11]
	s_delay_alu instid0(VALU_DEP_2) | instskip(NEXT) | instid1(VALU_DEP_2)
	v_add_f64_e32 v[12:13], v[8:9], v[12:13]
	v_add_f64_e32 v[14:15], v[10:11], v[14:15]
	ds_load_b128 v[8:11], v35 offset:32448
	global_wb scope:SCOPE_SE
	s_wait_dscnt 0x0
	s_barrier_signal -1
	s_barrier_wait -1
	global_inv scope:SCOPE_SE
	v_add_f64_e64 v[16:17], v[154:155], -v[10:11]
	v_add_f64_e32 v[18:19], v[152:153], v[8:9]
	v_add_f64_e32 v[20:21], v[154:155], v[10:11]
	v_add_f64_e64 v[22:23], v[152:153], -v[8:9]
	v_add_f64_e32 v[152:153], v[12:13], v[8:9]
	v_add_f64_e32 v[154:155], v[14:15], v[10:11]
	v_mul_f64_e32 v[8:9], s[28:29], v[16:17]
	v_mul_f64_e32 v[10:11], s[26:27], v[16:17]
	;; [unrolled: 1-line block ×8, first 2 shown]
	v_fma_f64 v[26:27], v[18:19], s[22:23], v[8:9]
	v_fma_f64 v[8:9], v[18:19], s[22:23], -v[8:9]
	v_fma_f64 v[28:29], v[18:19], s[20:21], v[10:11]
	v_fma_f64 v[30:31], v[18:19], s[20:21], -v[10:11]
	;; [unrolled: 2-line block ×6, first 2 shown]
	v_mul_f64_e32 v[10:11], s[22:23], v[20:21]
	v_mul_f64_e32 v[16:17], s[20:21], v[20:21]
	v_mul_f64_e32 v[18:19], s[12:13], v[20:21]
	v_mul_f64_e32 v[20:21], s[30:31], v[20:21]
	v_fma_f64 v[197:198], v[22:23], s[42:43], v[44:45]
	v_fma_f64 v[44:45], v[22:23], s[2:3], v[44:45]
	;; [unrolled: 1-line block ×4, first 2 shown]
	v_add_f64_e32 v[193:194], v[148:149], v[26:27]
	v_add_f64_e32 v[26:27], v[148:149], v[28:29]
	;; [unrolled: 1-line block ×9, first 2 shown]
	v_fma_f64 v[48:49], v[22:23], s[38:39], v[10:11]
	v_fma_f64 v[50:51], v[22:23], s[28:29], v[10:11]
	;; [unrolled: 1-line block ×8, first 2 shown]
	v_add_f64_e32 v[22:23], v[148:149], v[24:25]
	v_mul_f64_e32 v[24:25], s[2:3], v[191:192]
	v_add_f64_e32 v[20:21], v[150:151], v[46:47]
	v_add_f64_e32 v[10:11], v[148:149], v[8:9]
	;; [unrolled: 1-line block ×5, first 2 shown]
	v_mul_f64_e32 v[199:200], s[36:37], v[178:179]
	v_add_f64_e32 v[195:196], v[150:151], v[48:49]
	v_add_f64_e32 v[8:9], v[150:151], v[50:51]
	;; [unrolled: 1-line block ×9, first 2 shown]
	v_fma_f64 v[40:41], v[162:163], s[18:19], v[24:25]
	v_mul_f64_e32 v[201:202], s[12:13], v[176:177]
	v_mul_f64_e32 v[203:204], s[38:39], v[174:175]
	v_fma_f64 v[24:25], v[162:163], s[18:19], -v[24:25]
	s_delay_alu instid0(VALU_DEP_4) | instskip(SKIP_1) | instid1(VALU_DEP_3)
	v_add_f64_e32 v[26:27], v[40:41], v[26:27]
	v_mul_f64_e32 v[40:41], s[18:19], v[189:190]
	v_add_f64_e32 v[24:25], v[24:25], v[30:31]
	s_delay_alu instid0(VALU_DEP_2) | instskip(NEXT) | instid1(VALU_DEP_1)
	v_fma_f64 v[42:43], v[185:186], s[42:43], v[40:41]
	v_add_f64_e32 v[28:29], v[42:43], v[28:29]
	v_mul_f64_e32 v[42:43], s[34:35], v[6:7]
	s_delay_alu instid0(VALU_DEP_1) | instskip(SKIP_1) | instid1(VALU_DEP_2)
	v_fma_f64 v[46:47], v[166:167], s[30:31], v[42:43]
	v_fma_f64 v[30:31], v[166:167], s[30:31], -v[42:43]
	v_add_f64_e32 v[26:27], v[46:47], v[26:27]
	v_mul_f64_e32 v[46:47], s[30:31], v[4:5]
	s_delay_alu instid0(VALU_DEP_3) | instskip(NEXT) | instid1(VALU_DEP_2)
	v_add_f64_e32 v[24:25], v[30:31], v[24:25]
	v_fma_f64 v[148:149], v[160:161], s[46:47], v[46:47]
	v_fma_f64 v[30:31], v[160:161], s[34:35], v[46:47]
	s_delay_alu instid0(VALU_DEP_2) | instskip(SKIP_1) | instid1(VALU_DEP_1)
	v_add_f64_e32 v[28:29], v[148:149], v[28:29]
	v_mul_f64_e32 v[148:149], s[40:41], v[187:188]
	v_fma_f64 v[150:151], v[170:171], s[24:25], v[148:149]
	s_delay_alu instid0(VALU_DEP_1) | instskip(SKIP_1) | instid1(VALU_DEP_1)
	v_add_f64_e32 v[26:27], v[150:151], v[26:27]
	v_mul_f64_e32 v[150:151], s[24:25], v[183:184]
	v_fma_f64 v[156:157], v[164:165], s[14:15], v[150:151]
	s_delay_alu instid0(VALU_DEP_1) | instskip(SKIP_1) | instid1(VALU_DEP_1)
	v_add_f64_e32 v[28:29], v[156:157], v[28:29]
	v_fma_f64 v[156:157], v[172:173], s[12:13], v[199:200]
	v_add_f64_e32 v[26:27], v[156:157], v[26:27]
	v_fma_f64 v[156:157], v[168:169], s[16:17], v[201:202]
	s_delay_alu instid0(VALU_DEP_1) | instskip(SKIP_1) | instid1(VALU_DEP_1)
	v_add_f64_e32 v[28:29], v[156:157], v[28:29]
	v_fma_f64 v[156:157], v[0:1], s[22:23], v[203:204]
	v_add_f64_e32 v[156:157], v[156:157], v[26:27]
	v_mul_f64_e32 v[26:27], s[22:23], v[181:182]
	s_delay_alu instid0(VALU_DEP_1) | instskip(SKIP_1) | instid1(VALU_DEP_2)
	v_fma_f64 v[158:159], v[2:3], s[28:29], v[26:27]
	v_fma_f64 v[26:27], v[2:3], s[38:39], v[26:27]
	v_add_f64_e32 v[158:159], v[158:159], v[28:29]
	v_fma_f64 v[28:29], v[185:186], s[2:3], v[40:41]
	s_delay_alu instid0(VALU_DEP_1) | instskip(NEXT) | instid1(VALU_DEP_1)
	v_add_f64_e32 v[28:29], v[28:29], v[48:49]
	v_add_f64_e32 v[28:29], v[30:31], v[28:29]
	v_fma_f64 v[30:31], v[170:171], s[24:25], -v[148:149]
	s_delay_alu instid0(VALU_DEP_1) | instskip(SKIP_1) | instid1(VALU_DEP_1)
	v_add_f64_e32 v[24:25], v[30:31], v[24:25]
	v_fma_f64 v[30:31], v[164:165], s[40:41], v[150:151]
	v_add_f64_e32 v[28:29], v[30:31], v[28:29]
	v_fma_f64 v[30:31], v[172:173], s[12:13], -v[199:200]
	s_delay_alu instid0(VALU_DEP_1) | instskip(SKIP_1) | instid1(VALU_DEP_1)
	v_add_f64_e32 v[24:25], v[30:31], v[24:25]
	v_fma_f64 v[30:31], v[168:169], s[36:37], v[201:202]
	v_add_f64_e32 v[28:29], v[30:31], v[28:29]
	v_fma_f64 v[30:31], v[0:1], s[22:23], -v[203:204]
	s_delay_alu instid0(VALU_DEP_2) | instskip(SKIP_1) | instid1(VALU_DEP_3)
	v_add_f64_e32 v[150:151], v[26:27], v[28:29]
	v_mul_f64_e32 v[28:29], s[34:35], v[191:192]
	v_add_f64_e32 v[148:149], v[30:31], v[24:25]
	v_mul_f64_e32 v[30:31], s[30:31], v[189:190]
	s_delay_alu instid0(VALU_DEP_3) | instskip(SKIP_1) | instid1(VALU_DEP_3)
	v_fma_f64 v[24:25], v[162:163], s[30:31], v[28:29]
	v_fma_f64 v[28:29], v[162:163], s[30:31], -v[28:29]
	v_fma_f64 v[26:27], v[185:186], s[46:47], v[30:31]
	v_fma_f64 v[30:31], v[185:186], s[34:35], v[30:31]
	s_delay_alu instid0(VALU_DEP_4) | instskip(SKIP_1) | instid1(VALU_DEP_4)
	v_add_f64_e32 v[24:25], v[24:25], v[32:33]
	v_mul_f64_e32 v[32:33], s[42:43], v[6:7]
	v_add_f64_e32 v[26:27], v[26:27], v[50:51]
	v_add_f64_e32 v[28:29], v[28:29], v[205:206]
	;; [unrolled: 1-line block ×3, first 2 shown]
	v_mul_f64_e32 v[205:206], s[30:31], v[176:177]
	v_mul_f64_e32 v[207:208], s[44:45], v[174:175]
	v_fma_f64 v[40:41], v[166:167], s[18:19], v[32:33]
	v_fma_f64 v[32:33], v[166:167], s[18:19], -v[32:33]
	s_delay_alu instid0(VALU_DEP_2) | instskip(SKIP_1) | instid1(VALU_DEP_3)
	v_add_f64_e32 v[24:25], v[40:41], v[24:25]
	v_mul_f64_e32 v[40:41], s[18:19], v[4:5]
	v_add_f64_e32 v[28:29], v[32:33], v[28:29]
	s_delay_alu instid0(VALU_DEP_2) | instskip(SKIP_1) | instid1(VALU_DEP_2)
	v_fma_f64 v[42:43], v[160:161], s[2:3], v[40:41]
	v_fma_f64 v[32:33], v[160:161], s[42:43], v[40:41]
	v_add_f64_e32 v[26:27], v[42:43], v[26:27]
	v_mul_f64_e32 v[42:43], s[38:39], v[187:188]
	s_delay_alu instid0(VALU_DEP_3) | instskip(NEXT) | instid1(VALU_DEP_2)
	v_add_f64_e32 v[30:31], v[32:33], v[30:31]
	v_fma_f64 v[46:47], v[170:171], s[22:23], v[42:43]
	v_fma_f64 v[32:33], v[170:171], s[22:23], -v[42:43]
	s_delay_alu instid0(VALU_DEP_2) | instskip(SKIP_1) | instid1(VALU_DEP_3)
	v_add_f64_e32 v[24:25], v[46:47], v[24:25]
	v_mul_f64_e32 v[46:47], s[22:23], v[183:184]
	v_add_f64_e32 v[28:29], v[32:33], v[28:29]
	s_delay_alu instid0(VALU_DEP_2) | instskip(SKIP_2) | instid1(VALU_DEP_3)
	v_fma_f64 v[48:49], v[164:165], s[28:29], v[46:47]
	v_fma_f64 v[32:33], v[164:165], s[38:39], v[46:47]
	v_mul_f64_e32 v[46:47], s[38:39], v[6:7]
	v_add_f64_e32 v[26:27], v[48:49], v[26:27]
	v_mul_f64_e32 v[48:49], s[26:27], v[178:179]
	s_delay_alu instid0(VALU_DEP_4) | instskip(NEXT) | instid1(VALU_DEP_2)
	v_add_f64_e32 v[30:31], v[32:33], v[30:31]
	v_fma_f64 v[50:51], v[172:173], s[20:21], v[48:49]
	v_fma_f64 v[32:33], v[172:173], s[20:21], -v[48:49]
	v_fma_f64 v[48:49], v[166:167], s[22:23], v[46:47]
	s_delay_alu instid0(VALU_DEP_3) | instskip(SKIP_1) | instid1(VALU_DEP_4)
	v_add_f64_e32 v[24:25], v[50:51], v[24:25]
	v_mul_f64_e32 v[50:51], s[20:21], v[176:177]
	v_add_f64_e32 v[28:29], v[32:33], v[28:29]
	s_delay_alu instid0(VALU_DEP_2) | instskip(SKIP_1) | instid1(VALU_DEP_2)
	v_fma_f64 v[199:200], v[168:169], s[44:45], v[50:51]
	v_fma_f64 v[32:33], v[168:169], s[26:27], v[50:51]
	v_add_f64_e32 v[26:27], v[199:200], v[26:27]
	v_mul_f64_e32 v[199:200], s[14:15], v[174:175]
	s_delay_alu instid0(VALU_DEP_3) | instskip(NEXT) | instid1(VALU_DEP_2)
	v_add_f64_e32 v[30:31], v[32:33], v[30:31]
	v_fma_f64 v[201:202], v[0:1], s[24:25], v[199:200]
	v_fma_f64 v[32:33], v[0:1], s[24:25], -v[199:200]
	s_delay_alu instid0(VALU_DEP_2) | instskip(SKIP_1) | instid1(VALU_DEP_3)
	v_add_f64_e32 v[24:25], v[201:202], v[24:25]
	v_mul_f64_e32 v[201:202], s[24:25], v[181:182]
	v_add_f64_e32 v[28:29], v[32:33], v[28:29]
	v_mul_f64_e32 v[32:33], s[40:41], v[191:192]
	s_delay_alu instid0(VALU_DEP_3) | instskip(SKIP_2) | instid1(VALU_DEP_3)
	v_fma_f64 v[40:41], v[2:3], s[14:15], v[201:202]
	v_fma_f64 v[203:204], v[2:3], s[40:41], v[201:202]
	v_mul_f64_e32 v[201:202], s[12:13], v[183:184]
	v_add_f64_e32 v[30:31], v[40:41], v[30:31]
	v_fma_f64 v[40:41], v[162:163], s[24:25], v[32:33]
	s_delay_alu instid0(VALU_DEP_4) | instskip(SKIP_2) | instid1(VALU_DEP_4)
	v_add_f64_e32 v[26:27], v[203:204], v[26:27]
	v_mul_f64_e32 v[203:204], s[46:47], v[178:179]
	v_fma_f64 v[32:33], v[162:163], s[24:25], -v[32:33]
	v_add_f64_e32 v[36:37], v[40:41], v[36:37]
	v_mul_f64_e32 v[40:41], s[24:25], v[189:190]
	s_delay_alu instid0(VALU_DEP_3) | instskip(SKIP_1) | instid1(VALU_DEP_4)
	v_add_f64_e32 v[32:33], v[32:33], v[209:210]
	v_mul_f64_e32 v[209:210], s[22:23], v[176:177]
	v_add_f64_e32 v[36:37], v[48:49], v[36:37]
	s_delay_alu instid0(VALU_DEP_4) | instskip(SKIP_2) | instid1(VALU_DEP_3)
	v_fma_f64 v[42:43], v[185:186], s[14:15], v[40:41]
	v_mul_f64_e32 v[48:49], s[22:23], v[4:5]
	v_fma_f64 v[40:41], v[185:186], s[40:41], v[40:41]
	v_add_f64_e32 v[42:43], v[42:43], v[197:198]
	s_delay_alu instid0(VALU_DEP_3) | instskip(NEXT) | instid1(VALU_DEP_3)
	v_fma_f64 v[50:51], v[160:161], s[28:29], v[48:49]
	v_add_f64_e32 v[40:41], v[40:41], v[44:45]
	s_delay_alu instid0(VALU_DEP_2) | instskip(SKIP_1) | instid1(VALU_DEP_1)
	v_add_f64_e32 v[42:43], v[50:51], v[42:43]
	v_mul_f64_e32 v[50:51], s[16:17], v[187:188]
	v_fma_f64 v[197:198], v[170:171], s[12:13], v[50:51]
	s_delay_alu instid0(VALU_DEP_1) | instskip(SKIP_1) | instid1(VALU_DEP_1)
	v_add_f64_e32 v[36:37], v[197:198], v[36:37]
	v_fma_f64 v[197:198], v[164:165], s[36:37], v[201:202]
	v_add_f64_e32 v[42:43], v[197:198], v[42:43]
	v_fma_f64 v[197:198], v[172:173], s[30:31], v[203:204]
	s_delay_alu instid0(VALU_DEP_1) | instskip(SKIP_1) | instid1(VALU_DEP_1)
	v_add_f64_e32 v[36:37], v[197:198], v[36:37]
	v_fma_f64 v[197:198], v[168:169], s[34:35], v[205:206]
	v_add_f64_e32 v[42:43], v[197:198], v[42:43]
	v_fma_f64 v[197:198], v[0:1], s[20:21], v[207:208]
	s_delay_alu instid0(VALU_DEP_1) | instskip(SKIP_1) | instid1(VALU_DEP_1)
	v_add_f64_e32 v[197:198], v[197:198], v[36:37]
	v_mul_f64_e32 v[36:37], s[20:21], v[181:182]
	v_fma_f64 v[199:200], v[2:3], s[26:27], v[36:37]
	v_fma_f64 v[36:37], v[2:3], s[44:45], v[36:37]
	s_delay_alu instid0(VALU_DEP_2) | instskip(SKIP_1) | instid1(VALU_DEP_1)
	v_add_f64_e32 v[199:200], v[199:200], v[42:43]
	v_fma_f64 v[42:43], v[166:167], s[22:23], -v[46:47]
	v_add_f64_e32 v[32:33], v[42:43], v[32:33]
	v_fma_f64 v[42:43], v[160:161], s[38:39], v[48:49]
	s_delay_alu instid0(VALU_DEP_1) | instskip(SKIP_1) | instid1(VALU_DEP_1)
	v_add_f64_e32 v[40:41], v[42:43], v[40:41]
	v_fma_f64 v[42:43], v[170:171], s[12:13], -v[50:51]
	v_add_f64_e32 v[32:33], v[42:43], v[32:33]
	v_fma_f64 v[42:43], v[164:165], s[16:17], v[201:202]
	s_delay_alu instid0(VALU_DEP_1) | instskip(SKIP_1) | instid1(VALU_DEP_1)
	v_add_f64_e32 v[40:41], v[42:43], v[40:41]
	v_fma_f64 v[42:43], v[172:173], s[30:31], -v[203:204]
	v_add_f64_e32 v[32:33], v[42:43], v[32:33]
	v_fma_f64 v[42:43], v[168:169], s[46:47], v[205:206]
	s_delay_alu instid0(VALU_DEP_1) | instskip(SKIP_1) | instid1(VALU_DEP_2)
	v_add_f64_e32 v[40:41], v[42:43], v[40:41]
	v_fma_f64 v[42:43], v[0:1], s[20:21], -v[207:208]
	v_add_f64_e32 v[203:204], v[36:37], v[40:41]
	s_delay_alu instid0(VALU_DEP_2) | instskip(SKIP_2) | instid1(VALU_DEP_2)
	v_add_f64_e32 v[201:202], v[42:43], v[32:33]
	v_mul_f64_e32 v[32:33], s[36:37], v[191:192]
	v_mul_f64_e32 v[42:43], s[26:27], v[6:7]
	v_fma_f64 v[36:37], v[162:163], s[12:13], v[32:33]
	s_delay_alu instid0(VALU_DEP_2) | instskip(SKIP_1) | instid1(VALU_DEP_3)
	v_fma_f64 v[44:45], v[166:167], s[20:21], v[42:43]
	v_fma_f64 v[32:33], v[162:163], s[12:13], -v[32:33]
	v_add_f64_e32 v[36:37], v[36:37], v[38:39]
	v_mul_f64_e32 v[38:39], s[12:13], v[189:190]
	s_delay_alu instid0(VALU_DEP_3) | instskip(NEXT) | instid1(VALU_DEP_3)
	v_add_f64_e32 v[22:23], v[32:33], v[22:23]
	v_add_f64_e32 v[36:37], v[44:45], v[36:37]
	s_delay_alu instid0(VALU_DEP_3) | instskip(SKIP_2) | instid1(VALU_DEP_3)
	v_fma_f64 v[40:41], v[185:186], s[16:17], v[38:39]
	v_mul_f64_e32 v[44:45], s[20:21], v[4:5]
	v_fma_f64 v[32:33], v[185:186], s[36:37], v[38:39]
	v_add_f64_e32 v[40:41], v[40:41], v[211:212]
	s_delay_alu instid0(VALU_DEP_3) | instskip(NEXT) | instid1(VALU_DEP_3)
	v_fma_f64 v[46:47], v[160:161], s[44:45], v[44:45]
	v_add_f64_e32 v[20:21], v[32:33], v[20:21]
	v_fma_f64 v[32:33], v[166:167], s[20:21], -v[42:43]
	v_mul_f64_e32 v[211:212], s[2:3], v[174:175]
	s_delay_alu instid0(VALU_DEP_4) | instskip(SKIP_1) | instid1(VALU_DEP_4)
	v_add_f64_e32 v[40:41], v[46:47], v[40:41]
	v_mul_f64_e32 v[46:47], s[46:47], v[187:188]
	v_add_f64_e32 v[22:23], v[32:33], v[22:23]
	v_fma_f64 v[32:33], v[160:161], s[26:27], v[44:45]
	s_delay_alu instid0(VALU_DEP_3) | instskip(NEXT) | instid1(VALU_DEP_2)
	v_fma_f64 v[48:49], v[170:171], s[30:31], v[46:47]
	v_add_f64_e32 v[20:21], v[32:33], v[20:21]
	v_fma_f64 v[32:33], v[170:171], s[30:31], -v[46:47]
	s_delay_alu instid0(VALU_DEP_3) | instskip(SKIP_1) | instid1(VALU_DEP_3)
	v_add_f64_e32 v[36:37], v[48:49], v[36:37]
	v_mul_f64_e32 v[48:49], s[30:31], v[183:184]
	v_add_f64_e32 v[22:23], v[32:33], v[22:23]
	s_delay_alu instid0(VALU_DEP_2) | instskip(SKIP_1) | instid1(VALU_DEP_2)
	v_fma_f64 v[50:51], v[164:165], s[34:35], v[48:49]
	v_fma_f64 v[32:33], v[164:165], s[46:47], v[48:49]
	v_add_f64_e32 v[40:41], v[50:51], v[40:41]
	v_mul_f64_e32 v[50:51], s[38:39], v[178:179]
	s_delay_alu instid0(VALU_DEP_3) | instskip(NEXT) | instid1(VALU_DEP_2)
	v_add_f64_e32 v[20:21], v[32:33], v[20:21]
	v_fma_f64 v[205:206], v[172:173], s[22:23], v[50:51]
	v_fma_f64 v[32:33], v[172:173], s[22:23], -v[50:51]
	s_delay_alu instid0(VALU_DEP_2) | instskip(SKIP_1) | instid1(VALU_DEP_3)
	v_add_f64_e32 v[36:37], v[205:206], v[36:37]
	v_fma_f64 v[205:206], v[168:169], s[28:29], v[209:210]
	v_add_f64_e32 v[22:23], v[32:33], v[22:23]
	v_fma_f64 v[32:33], v[168:169], s[38:39], v[209:210]
	v_mul_f64_e32 v[209:210], s[36:37], v[174:175]
	s_delay_alu instid0(VALU_DEP_4) | instskip(SKIP_1) | instid1(VALU_DEP_4)
	v_add_f64_e32 v[40:41], v[205:206], v[40:41]
	v_fma_f64 v[205:206], v[0:1], s[18:19], v[211:212]
	v_add_f64_e32 v[32:33], v[32:33], v[20:21]
	v_fma_f64 v[20:21], v[0:1], s[18:19], -v[211:212]
	v_mul_f64_e32 v[211:212], s[12:13], v[181:182]
	s_delay_alu instid0(VALU_DEP_4) | instskip(SKIP_1) | instid1(VALU_DEP_4)
	v_add_f64_e32 v[205:206], v[205:206], v[36:37]
	v_mul_f64_e32 v[36:37], s[18:19], v[181:182]
	v_add_f64_e32 v[20:21], v[20:21], v[22:23]
	s_delay_alu instid0(VALU_DEP_2) | instskip(SKIP_1) | instid1(VALU_DEP_2)
	v_fma_f64 v[207:208], v[2:3], s[42:43], v[36:37]
	v_fma_f64 v[36:37], v[2:3], s[2:3], v[36:37]
	v_add_f64_e32 v[207:208], v[207:208], v[40:41]
	s_delay_alu instid0(VALU_DEP_2) | instskip(SKIP_1) | instid1(VALU_DEP_1)
	v_add_f64_e32 v[22:23], v[36:37], v[32:33]
	v_mul_f64_e32 v[32:33], s[38:39], v[191:192]
	v_fma_f64 v[36:37], v[162:163], s[22:23], v[32:33]
	v_fma_f64 v[32:33], v[162:163], s[22:23], -v[32:33]
	s_delay_alu instid0(VALU_DEP_2) | instskip(SKIP_1) | instid1(VALU_DEP_3)
	v_add_f64_e32 v[18:19], v[36:37], v[18:19]
	v_mul_f64_e32 v[36:37], s[22:23], v[189:190]
	v_add_f64_e32 v[14:15], v[32:33], v[14:15]
	s_delay_alu instid0(VALU_DEP_2) | instskip(SKIP_2) | instid1(VALU_DEP_3)
	v_fma_f64 v[38:39], v[185:186], s[28:29], v[36:37]
	v_fma_f64 v[32:33], v[185:186], s[38:39], v[36:37]
	;; [unrolled: 1-line block ×3, first 2 shown]
	v_add_f64_e32 v[16:17], v[38:39], v[16:17]
	v_mul_f64_e32 v[38:39], s[14:15], v[6:7]
	s_delay_alu instid0(VALU_DEP_4) | instskip(NEXT) | instid1(VALU_DEP_2)
	v_add_f64_e32 v[12:13], v[32:33], v[12:13]
	v_fma_f64 v[40:41], v[166:167], s[24:25], v[38:39]
	v_fma_f64 v[32:33], v[166:167], s[24:25], -v[38:39]
	s_delay_alu instid0(VALU_DEP_2) | instskip(SKIP_1) | instid1(VALU_DEP_3)
	v_add_f64_e32 v[18:19], v[40:41], v[18:19]
	v_mul_f64_e32 v[40:41], s[24:25], v[4:5]
	v_add_f64_e32 v[14:15], v[32:33], v[14:15]
	s_delay_alu instid0(VALU_DEP_2) | instskip(SKIP_1) | instid1(VALU_DEP_2)
	v_fma_f64 v[42:43], v[160:161], s[40:41], v[40:41]
	v_fma_f64 v[32:33], v[160:161], s[14:15], v[40:41]
	v_add_f64_e32 v[16:17], v[42:43], v[16:17]
	v_mul_f64_e32 v[42:43], s[44:45], v[187:188]
	s_delay_alu instid0(VALU_DEP_3) | instskip(NEXT) | instid1(VALU_DEP_2)
	v_add_f64_e32 v[12:13], v[32:33], v[12:13]
	v_fma_f64 v[44:45], v[170:171], s[20:21], v[42:43]
	v_fma_f64 v[32:33], v[170:171], s[20:21], -v[42:43]
	s_delay_alu instid0(VALU_DEP_2) | instskip(SKIP_1) | instid1(VALU_DEP_3)
	v_add_f64_e32 v[18:19], v[44:45], v[18:19]
	v_mul_f64_e32 v[44:45], s[20:21], v[183:184]
	v_add_f64_e32 v[14:15], v[32:33], v[14:15]
	s_delay_alu instid0(VALU_DEP_2) | instskip(SKIP_1) | instid1(VALU_DEP_2)
	v_fma_f64 v[46:47], v[164:165], s[26:27], v[44:45]
	v_fma_f64 v[32:33], v[164:165], s[44:45], v[44:45]
	v_add_f64_e32 v[16:17], v[46:47], v[16:17]
	v_mul_f64_e32 v[46:47], s[2:3], v[178:179]
	s_delay_alu instid0(VALU_DEP_3) | instskip(NEXT) | instid1(VALU_DEP_2)
	v_add_f64_e32 v[12:13], v[32:33], v[12:13]
	v_fma_f64 v[48:49], v[172:173], s[18:19], v[46:47]
	v_fma_f64 v[32:33], v[172:173], s[18:19], -v[46:47]
	s_delay_alu instid0(VALU_DEP_2) | instskip(SKIP_1) | instid1(VALU_DEP_3)
	v_add_f64_e32 v[18:19], v[48:49], v[18:19]
	v_mul_f64_e32 v[48:49], s[18:19], v[176:177]
	v_add_f64_e32 v[14:15], v[32:33], v[14:15]
	s_delay_alu instid0(VALU_DEP_2) | instskip(SKIP_2) | instid1(VALU_DEP_3)
	v_fma_f64 v[32:33], v[168:169], s[2:3], v[48:49]
	v_fma_f64 v[50:51], v[168:169], s[42:43], v[48:49]
	v_mul_f64_e32 v[48:49], s[34:35], v[174:175]
	v_add_f64_e32 v[32:33], v[32:33], v[12:13]
	v_fma_f64 v[12:13], v[0:1], s[12:13], -v[209:210]
	s_delay_alu instid0(VALU_DEP_4) | instskip(SKIP_1) | instid1(VALU_DEP_3)
	v_add_f64_e32 v[50:51], v[50:51], v[16:17]
	v_fma_f64 v[16:17], v[0:1], s[12:13], v[209:210]
	v_add_f64_e32 v[12:13], v[12:13], v[14:15]
	v_add_f64_e32 v[14:15], v[36:37], v[32:33]
	v_mul_f64_e32 v[32:33], s[26:27], v[191:192]
	s_delay_alu instid0(VALU_DEP_4) | instskip(SKIP_1) | instid1(VALU_DEP_3)
	v_add_f64_e32 v[16:17], v[16:17], v[18:19]
	v_fma_f64 v[18:19], v[2:3], s[16:17], v[211:212]
	v_fma_f64 v[36:37], v[162:163], s[20:21], -v[32:33]
	v_fma_f64 v[32:33], v[162:163], s[20:21], v[32:33]
	s_delay_alu instid0(VALU_DEP_3) | instskip(SKIP_1) | instid1(VALU_DEP_4)
	v_add_f64_e32 v[18:19], v[18:19], v[50:51]
	v_mul_f64_e32 v[50:51], s[30:31], v[181:182]
	v_add_f64_e32 v[10:11], v[36:37], v[10:11]
	v_mul_f64_e32 v[36:37], s[20:21], v[189:190]
	v_add_f64_e32 v[32:33], v[32:33], v[193:194]
	s_delay_alu instid0(VALU_DEP_2) | instskip(SKIP_1) | instid1(VALU_DEP_2)
	v_fma_f64 v[38:39], v[185:186], s[26:27], v[36:37]
	v_fma_f64 v[36:37], v[185:186], s[44:45], v[36:37]
	v_add_f64_e32 v[8:9], v[38:39], v[8:9]
	v_mul_f64_e32 v[38:39], s[16:17], v[6:7]
	s_delay_alu instid0(VALU_DEP_3) | instskip(NEXT) | instid1(VALU_DEP_2)
	v_add_f64_e32 v[36:37], v[36:37], v[195:196]
	v_fma_f64 v[6:7], v[166:167], s[12:13], -v[38:39]
	v_fma_f64 v[38:39], v[166:167], s[12:13], v[38:39]
	s_delay_alu instid0(VALU_DEP_2) | instskip(SKIP_1) | instid1(VALU_DEP_3)
	v_add_f64_e32 v[6:7], v[6:7], v[10:11]
	v_mul_f64_e32 v[10:11], s[12:13], v[4:5]
	v_add_f64_e32 v[32:33], v[38:39], v[32:33]
	s_delay_alu instid0(VALU_DEP_2) | instskip(SKIP_1) | instid1(VALU_DEP_2)
	v_fma_f64 v[4:5], v[160:161], s[16:17], v[10:11]
	v_fma_f64 v[10:11], v[160:161], s[36:37], v[10:11]
	v_add_f64_e32 v[4:5], v[4:5], v[8:9]
	v_mul_f64_e32 v[8:9], s[2:3], v[187:188]
	s_delay_alu instid0(VALU_DEP_3) | instskip(NEXT) | instid1(VALU_DEP_2)
	v_add_f64_e32 v[10:11], v[10:11], v[36:37]
	v_fma_f64 v[40:41], v[170:171], s[18:19], -v[8:9]
	v_fma_f64 v[8:9], v[170:171], s[18:19], v[8:9]
	s_delay_alu instid0(VALU_DEP_2) | instskip(SKIP_1) | instid1(VALU_DEP_3)
	;; [unrolled: 13-line block ×3, first 2 shown]
	v_add_f64_e32 v[6:7], v[44:45], v[6:7]
	v_mul_f64_e32 v[44:45], s[24:25], v[176:177]
	v_add_f64_e32 v[8:9], v[36:37], v[8:9]
	s_delay_alu instid0(VALU_DEP_2) | instskip(SKIP_1) | instid1(VALU_DEP_2)
	v_fma_f64 v[46:47], v[168:169], s[14:15], v[44:45]
	v_fma_f64 v[38:39], v[168:169], s[40:41], v[44:45]
	v_add_f64_e32 v[46:47], v[46:47], v[4:5]
	v_fma_f64 v[4:5], v[0:1], s[30:31], -v[48:49]
	v_fma_f64 v[0:1], v[0:1], s[30:31], v[48:49]
	s_delay_alu instid0(VALU_DEP_4) | instskip(NEXT) | instid1(VALU_DEP_3)
	v_add_f64_e32 v[10:11], v[38:39], v[10:11]
	v_add_f64_e32 v[4:5], v[4:5], v[6:7]
	v_fma_f64 v[6:7], v[2:3], s[34:35], v[50:51]
	v_fma_f64 v[2:3], v[2:3], s[46:47], v[50:51]
	v_add_f64_e32 v[0:1], v[0:1], v[8:9]
	s_delay_alu instid0(VALU_DEP_3) | instskip(NEXT) | instid1(VALU_DEP_3)
	v_add_f64_e32 v[6:7], v[6:7], v[46:47]
	v_add_f64_e32 v[2:3], v[2:3], v[10:11]
	ds_store_b128 v255, v[156:159] offset:32
	ds_store_b128 v255, v[24:27] offset:48
	;; [unrolled: 1-line block ×12, first 2 shown]
	ds_store_b128 v255, v[152:155]
	global_wb scope:SCOPE_SE
	s_wait_dscnt 0x0
	s_barrier_signal -1
	s_barrier_wait -1
	global_inv scope:SCOPE_SE
	ds_load_b128 v[0:3], v35 offset:2704
	ds_load_b128 v[4:7], v35
	s_wait_dscnt 0x1
	v_mul_f64_e32 v[8:9], v[58:59], v[2:3]
	s_delay_alu instid0(VALU_DEP_1) | instskip(SKIP_1) | instid1(VALU_DEP_1)
	v_fma_f64 v[12:13], v[56:57], v[0:1], v[8:9]
	v_mul_f64_e32 v[0:1], v[58:59], v[0:1]
	v_fma_f64 v[14:15], v[56:57], v[2:3], -v[0:1]
	ds_load_b128 v[0:3], v35 offset:5408
	ds_load_b128 v[8:11], v35 offset:8112
	s_wait_dscnt 0x1
	v_mul_f64_e32 v[16:17], v[54:55], v[2:3]
	v_add_f64_e32 v[154:155], v[6:7], v[14:15]
	s_delay_alu instid0(VALU_DEP_2) | instskip(SKIP_1) | instid1(VALU_DEP_1)
	v_fma_f64 v[148:149], v[52:53], v[0:1], v[16:17]
	v_mul_f64_e32 v[0:1], v[54:55], v[0:1]
	v_fma_f64 v[150:151], v[52:53], v[2:3], -v[0:1]
	s_wait_dscnt 0x0
	v_mul_f64_e32 v[0:1], v[82:83], v[10:11]
	s_delay_alu instid0(VALU_DEP_1) | instskip(SKIP_1) | instid1(VALU_DEP_1)
	v_fma_f64 v[152:153], v[80:81], v[8:9], v[0:1]
	v_mul_f64_e32 v[0:1], v[82:83], v[8:9]
	v_fma_f64 v[80:81], v[80:81], v[10:11], -v[0:1]
	ds_load_b128 v[0:3], v35 offset:10816
	ds_load_b128 v[8:11], v35 offset:13520
	s_wait_dscnt 0x1
	v_mul_f64_e32 v[16:17], v[70:71], v[2:3]
	s_delay_alu instid0(VALU_DEP_1) | instskip(SKIP_1) | instid1(VALU_DEP_1)
	v_fma_f64 v[82:83], v[68:69], v[0:1], v[16:17]
	v_mul_f64_e32 v[0:1], v[70:71], v[0:1]
	v_fma_f64 v[68:69], v[68:69], v[2:3], -v[0:1]
	s_wait_dscnt 0x0
	v_mul_f64_e32 v[0:1], v[90:91], v[10:11]
	s_delay_alu instid0(VALU_DEP_1) | instskip(SKIP_1) | instid1(VALU_DEP_1)
	v_fma_f64 v[70:71], v[88:89], v[8:9], v[0:1]
	v_mul_f64_e32 v[0:1], v[90:91], v[8:9]
	v_fma_f64 v[88:89], v[88:89], v[10:11], -v[0:1]
	ds_load_b128 v[0:3], v35 offset:16224
	ds_load_b128 v[8:11], v35 offset:18928
	s_wait_dscnt 0x1
	v_mul_f64_e32 v[16:17], v[74:75], v[2:3]
	s_delay_alu instid0(VALU_DEP_1) | instskip(SKIP_1) | instid1(VALU_DEP_1)
	;; [unrolled: 14-line block ×3, first 2 shown]
	v_fma_f64 v[94:95], v[76:77], v[0:1], v[16:17]
	v_mul_f64_e32 v[0:1], v[78:79], v[0:1]
	v_fma_f64 v[76:77], v[76:77], v[2:3], -v[0:1]
	s_wait_dscnt 0x0
	v_mul_f64_e32 v[0:1], v[102:103], v[10:11]
	s_delay_alu instid0(VALU_DEP_1) | instskip(SKIP_1) | instid1(VALU_DEP_1)
	v_fma_f64 v[78:79], v[100:101], v[8:9], v[0:1]
	v_mul_f64_e32 v[0:1], v[102:103], v[8:9]
	v_fma_f64 v[100:101], v[100:101], v[10:11], -v[0:1]
	ds_load_b128 v[0:3], v35 offset:27040
	ds_load_b128 v[8:11], v35 offset:29744
	s_wait_dscnt 0x1
	v_mul_f64_e32 v[16:17], v[86:87], v[2:3]
	s_delay_alu instid0(VALU_DEP_1) | instskip(SKIP_1) | instid1(VALU_DEP_2)
	v_fma_f64 v[102:103], v[84:85], v[0:1], v[16:17]
	v_mul_f64_e32 v[0:1], v[86:87], v[0:1]
	v_add_f64_e32 v[193:194], v[152:153], v[102:103]
	s_delay_alu instid0(VALU_DEP_2) | instskip(SKIP_3) | instid1(VALU_DEP_3)
	v_fma_f64 v[84:85], v[84:85], v[2:3], -v[0:1]
	s_wait_dscnt 0x0
	v_mul_f64_e32 v[0:1], v[106:107], v[10:11]
	v_add_f64_e64 v[199:200], v[152:153], -v[102:103]
	v_add_f64_e64 v[205:206], v[80:81], -v[84:85]
	s_delay_alu instid0(VALU_DEP_3) | instskip(SKIP_2) | instid1(VALU_DEP_3)
	v_fma_f64 v[86:87], v[104:105], v[8:9], v[0:1]
	v_mul_f64_e32 v[0:1], v[106:107], v[8:9]
	v_add_f64_e32 v[211:212], v[80:81], v[84:85]
	v_add_f64_e32 v[168:169], v[148:149], v[86:87]
	s_delay_alu instid0(VALU_DEP_3)
	v_fma_f64 v[104:105], v[104:105], v[10:11], -v[0:1]
	ds_load_b128 v[0:3], v35 offset:32448
	v_add_f64_e64 v[170:171], v[148:149], -v[86:87]
	global_wb scope:SCOPE_SE
	s_wait_dscnt 0x0
	s_barrier_signal -1
	s_barrier_wait -1
	global_inv scope:SCOPE_SE
	v_mul_f64_e32 v[8:9], v[98:99], v[0:1]
	v_add_f64_e64 v[181:182], v[150:151], -v[104:105]
	v_add_f64_e32 v[183:184], v[150:151], v[104:105]
	s_delay_alu instid0(VALU_DEP_3) | instskip(SKIP_2) | instid1(VALU_DEP_2)
	v_fma_f64 v[106:107], v[96:97], v[2:3], -v[8:9]
	v_mul_f64_e32 v[2:3], v[98:99], v[2:3]
	v_add_f64_e32 v[98:99], v[4:5], v[12:13]
	v_fma_f64 v[96:97], v[96:97], v[0:1], v[2:3]
	s_delay_alu instid0(VALU_DEP_4) | instskip(NEXT) | instid1(VALU_DEP_2)
	v_add_f64_e64 v[0:1], v[14:15], -v[106:107]
	v_add_f64_e32 v[20:21], v[12:13], v[96:97]
	s_delay_alu instid0(VALU_DEP_2)
	v_mul_f64_e32 v[2:3], s[28:29], v[0:1]
	v_mul_f64_e32 v[8:9], s[26:27], v[0:1]
	;; [unrolled: 1-line block ×6, first 2 shown]
	v_add_f64_e64 v[46:47], v[12:13], -v[96:97]
	v_fma_f64 v[22:23], v[20:21], s[22:23], v[2:3]
	v_fma_f64 v[2:3], v[20:21], s[22:23], -v[2:3]
	v_fma_f64 v[24:25], v[20:21], s[20:21], v[8:9]
	v_fma_f64 v[8:9], v[20:21], s[20:21], -v[8:9]
	;; [unrolled: 2-line block ×6, first 2 shown]
	v_add_f64_e32 v[0:1], v[14:15], v[106:107]
	v_add_f64_e32 v[12:13], v[4:5], v[22:23]
	;; [unrolled: 1-line block ×13, first 2 shown]
	v_mul_f64_e32 v[36:37], s[22:23], v[0:1]
	v_mul_f64_e32 v[38:39], s[20:21], v[0:1]
	;; [unrolled: 1-line block ×9, first 2 shown]
	v_fma_f64 v[48:49], v[46:47], s[38:39], v[36:37]
	v_fma_f64 v[36:37], v[46:47], s[28:29], v[36:37]
	;; [unrolled: 1-line block ×12, first 2 shown]
	v_add_f64_e32 v[14:15], v[6:7], v[48:49]
	v_add_f64_e32 v[0:1], v[6:7], v[36:37]
	v_add_f64_e32 v[207:208], v[6:7], v[50:51]
	v_add_f64_e32 v[201:202], v[6:7], v[38:39]
	v_add_f64_e32 v[195:196], v[6:7], v[52:53]
	v_add_f64_e32 v[189:190], v[6:7], v[40:41]
	v_add_f64_e32 v[185:186], v[6:7], v[54:55]
	v_add_f64_e32 v[176:177], v[6:7], v[42:43]
	v_add_f64_e32 v[172:173], v[6:7], v[56:57]
	v_add_f64_e32 v[164:165], v[6:7], v[44:45]
	v_add_f64_e32 v[160:161], v[6:7], v[58:59]
	v_add_f64_e32 v[158:159], v[6:7], v[46:47]
	v_fma_f64 v[6:7], v[168:169], s[20:21], v[4:5]
	v_fma_f64 v[4:5], v[168:169], s[20:21], -v[4:5]
	v_add_f64_e32 v[44:45], v[90:91], v[74:75]
	s_delay_alu instid0(VALU_DEP_3) | instskip(SKIP_3) | instid1(VALU_DEP_3)
	v_add_f64_e32 v[8:9], v[6:7], v[12:13]
	v_mul_f64_e32 v[6:7], s[20:21], v[183:184]
	v_fma_f64 v[12:13], v[193:194], s[12:13], v[16:17]
	v_add_f64_e32 v[2:3], v[4:5], v[2:3]
	v_fma_f64 v[10:11], v[170:171], s[44:45], v[6:7]
	v_fma_f64 v[4:5], v[170:171], s[26:27], v[6:7]
	s_delay_alu instid0(VALU_DEP_2)
	v_add_f64_e32 v[10:11], v[10:11], v[14:15]
	v_add_f64_e32 v[14:15], v[12:13], v[8:9]
	v_fma_f64 v[8:9], v[199:200], s[36:37], v[18:19]
	v_add_f64_e64 v[12:13], v[68:69], -v[100:101]
	v_add_f64_e32 v[0:1], v[4:5], v[0:1]
	v_fma_f64 v[4:5], v[193:194], s[12:13], -v[16:17]
	v_mul_f64_e32 v[16:17], s[34:35], v[205:206]
	v_add_f64_e32 v[20:21], v[8:9], v[10:11]
	v_add_f64_e32 v[8:9], v[82:83], v[78:79]
	v_mul_f64_e32 v[28:29], s[2:3], v[12:13]
	v_add_f64_e32 v[2:3], v[4:5], v[2:3]
	v_fma_f64 v[4:5], v[199:200], s[16:17], v[18:19]
	v_fma_f64 v[18:19], v[193:194], s[30:31], v[16:17]
	v_fma_f64 v[16:17], v[193:194], s[30:31], -v[16:17]
	v_fma_f64 v[10:11], v[8:9], s[18:19], v[28:29]
	s_delay_alu instid0(VALU_DEP_4) | instskip(SKIP_1) | instid1(VALU_DEP_3)
	v_add_f64_e32 v[0:1], v[4:5], v[0:1]
	v_fma_f64 v[4:5], v[8:9], s[18:19], -v[28:29]
	v_add_f64_e32 v[22:23], v[10:11], v[14:15]
	v_add_f64_e32 v[14:15], v[68:69], v[100:101]
	v_add_f64_e64 v[10:11], v[82:83], -v[78:79]
	s_delay_alu instid0(VALU_DEP_4) | instskip(NEXT) | instid1(VALU_DEP_3)
	v_add_f64_e32 v[2:3], v[4:5], v[2:3]
	v_mul_f64_e32 v[30:31], s[18:19], v[14:15]
	s_delay_alu instid0(VALU_DEP_1) | instskip(SKIP_1) | instid1(VALU_DEP_2)
	v_fma_f64 v[24:25], v[10:11], s[42:43], v[30:31]
	v_fma_f64 v[4:5], v[10:11], s[2:3], v[30:31]
	v_add_f64_e32 v[32:33], v[24:25], v[20:21]
	v_add_f64_e64 v[24:25], v[88:89], -v[76:77]
	v_add_f64_e32 v[20:21], v[70:71], v[94:95]
	s_delay_alu instid0(VALU_DEP_4) | instskip(NEXT) | instid1(VALU_DEP_3)
	v_add_f64_e32 v[0:1], v[4:5], v[0:1]
	v_mul_f64_e32 v[36:37], s[14:15], v[24:25]
	s_delay_alu instid0(VALU_DEP_1) | instskip(SKIP_1) | instid1(VALU_DEP_2)
	v_fma_f64 v[26:27], v[20:21], s[24:25], v[36:37]
	v_fma_f64 v[4:5], v[20:21], s[24:25], -v[36:37]
	v_add_f64_e32 v[38:39], v[26:27], v[22:23]
	v_add_f64_e32 v[26:27], v[88:89], v[76:77]
	v_add_f64_e64 v[22:23], v[70:71], -v[94:95]
	s_delay_alu instid0(VALU_DEP_4) | instskip(NEXT) | instid1(VALU_DEP_3)
	v_add_f64_e32 v[2:3], v[4:5], v[2:3]
	v_mul_f64_e32 v[40:41], s[24:25], v[26:27]
	s_delay_alu instid0(VALU_DEP_1) | instskip(SKIP_1) | instid1(VALU_DEP_2)
	v_fma_f64 v[42:43], v[22:23], s[40:41], v[40:41]
	v_fma_f64 v[4:5], v[22:23], s[14:15], v[40:41]
	v_add_f64_e32 v[32:33], v[42:43], v[32:33]
	v_add_f64_e64 v[42:43], v[72:73], -v[92:93]
	s_delay_alu instid0(VALU_DEP_3) | instskip(NEXT) | instid1(VALU_DEP_2)
	v_add_f64_e32 v[0:1], v[4:5], v[0:1]
	v_mul_f64_e32 v[46:47], s[34:35], v[42:43]
	s_delay_alu instid0(VALU_DEP_1) | instskip(SKIP_1) | instid1(VALU_DEP_2)
	v_fma_f64 v[48:49], v[44:45], s[30:31], v[46:47]
	v_fma_f64 v[4:5], v[44:45], s[30:31], -v[46:47]
	v_add_f64_e32 v[52:53], v[48:49], v[38:39]
	v_add_f64_e32 v[38:39], v[72:73], v[92:93]
	v_add_f64_e64 v[48:49], v[90:91], -v[74:75]
	s_delay_alu instid0(VALU_DEP_4) | instskip(SKIP_1) | instid1(VALU_DEP_4)
	v_add_f64_e32 v[56:57], v[4:5], v[2:3]
	v_mul_f64_e32 v[4:5], s[2:3], v[181:182]
	v_mul_f64_e32 v[50:51], s[30:31], v[38:39]
	s_delay_alu instid0(VALU_DEP_1) | instskip(SKIP_1) | instid1(VALU_DEP_2)
	v_fma_f64 v[6:7], v[48:49], s[34:35], v[50:51]
	v_fma_f64 v[54:55], v[48:49], s[46:47], v[50:51]
	v_add_f64_e32 v[58:59], v[6:7], v[0:1]
	v_fma_f64 v[0:1], v[168:169], s[18:19], v[4:5]
	v_mul_f64_e32 v[6:7], s[18:19], v[183:184]
	v_fma_f64 v[4:5], v[168:169], s[18:19], -v[4:5]
	v_add_f64_e32 v[54:55], v[54:55], v[32:33]
	s_delay_alu instid0(VALU_DEP_4) | instskip(NEXT) | instid1(VALU_DEP_4)
	v_add_f64_e32 v[0:1], v[0:1], v[209:210]
	v_fma_f64 v[2:3], v[170:171], s[42:43], v[6:7]
	s_delay_alu instid0(VALU_DEP_4) | instskip(SKIP_1) | instid1(VALU_DEP_4)
	v_add_f64_e32 v[4:5], v[4:5], v[203:204]
	v_fma_f64 v[6:7], v[170:171], s[2:3], v[6:7]
	v_add_f64_e32 v[0:1], v[18:19], v[0:1]
	v_mul_f64_e32 v[18:19], s[30:31], v[211:212]
	v_add_f64_e32 v[2:3], v[2:3], v[207:208]
	s_delay_alu instid0(VALU_DEP_4) | instskip(SKIP_1) | instid1(VALU_DEP_4)
	v_add_f64_e32 v[6:7], v[6:7], v[201:202]
	v_add_f64_e32 v[4:5], v[16:17], v[4:5]
	v_fma_f64 v[28:29], v[199:200], s[46:47], v[18:19]
	v_fma_f64 v[16:17], v[199:200], s[34:35], v[18:19]
	s_delay_alu instid0(VALU_DEP_2) | instskip(SKIP_1) | instid1(VALU_DEP_3)
	v_add_f64_e32 v[2:3], v[28:29], v[2:3]
	v_mul_f64_e32 v[28:29], s[40:41], v[12:13]
	v_add_f64_e32 v[6:7], v[16:17], v[6:7]
	s_delay_alu instid0(VALU_DEP_2) | instskip(SKIP_2) | instid1(VALU_DEP_3)
	v_fma_f64 v[30:31], v[8:9], s[24:25], v[28:29]
	v_fma_f64 v[16:17], v[8:9], s[24:25], -v[28:29]
	v_mul_f64_e32 v[28:29], s[34:35], v[181:182]
	v_add_f64_e32 v[0:1], v[30:31], v[0:1]
	v_mul_f64_e32 v[30:31], s[24:25], v[14:15]
	s_delay_alu instid0(VALU_DEP_4) | instskip(NEXT) | instid1(VALU_DEP_2)
	v_add_f64_e32 v[4:5], v[16:17], v[4:5]
	v_fma_f64 v[32:33], v[10:11], s[14:15], v[30:31]
	v_fma_f64 v[16:17], v[10:11], s[40:41], v[30:31]
	v_mul_f64_e32 v[30:31], s[30:31], v[183:184]
	s_delay_alu instid0(VALU_DEP_3) | instskip(SKIP_1) | instid1(VALU_DEP_4)
	v_add_f64_e32 v[2:3], v[32:33], v[2:3]
	v_mul_f64_e32 v[32:33], s[36:37], v[24:25]
	v_add_f64_e32 v[6:7], v[16:17], v[6:7]
	s_delay_alu instid0(VALU_DEP_2) | instskip(SKIP_2) | instid1(VALU_DEP_3)
	v_fma_f64 v[36:37], v[20:21], s[12:13], v[32:33]
	v_fma_f64 v[16:17], v[20:21], s[12:13], -v[32:33]
	v_mul_f64_e32 v[32:33], s[42:43], v[205:206]
	v_add_f64_e32 v[0:1], v[36:37], v[0:1]
	v_mul_f64_e32 v[36:37], s[12:13], v[26:27]
	s_delay_alu instid0(VALU_DEP_4) | instskip(NEXT) | instid1(VALU_DEP_2)
	v_add_f64_e32 v[4:5], v[16:17], v[4:5]
	v_fma_f64 v[40:41], v[22:23], s[16:17], v[36:37]
	v_fma_f64 v[16:17], v[22:23], s[36:37], v[36:37]
	;; [unrolled: 1-line block ×3, first 2 shown]
	v_fma_f64 v[32:33], v[193:194], s[18:19], -v[32:33]
	s_delay_alu instid0(VALU_DEP_4) | instskip(SKIP_2) | instid1(VALU_DEP_2)
	v_add_f64_e32 v[2:3], v[40:41], v[2:3]
	v_mul_f64_e32 v[40:41], s[38:39], v[42:43]
	v_add_f64_e32 v[6:7], v[16:17], v[6:7]
	v_fma_f64 v[46:47], v[44:45], s[22:23], v[40:41]
	v_fma_f64 v[16:17], v[44:45], s[22:23], -v[40:41]
	s_delay_alu instid0(VALU_DEP_2) | instskip(SKIP_1) | instid1(VALU_DEP_3)
	v_add_f64_e32 v[0:1], v[46:47], v[0:1]
	v_mul_f64_e32 v[46:47], s[22:23], v[38:39]
	v_add_f64_e32 v[4:5], v[16:17], v[4:5]
	v_fma_f64 v[16:17], v[168:169], s[30:31], v[28:29]
	v_fma_f64 v[28:29], v[168:169], s[30:31], -v[28:29]
	s_delay_alu instid0(VALU_DEP_4) | instskip(SKIP_1) | instid1(VALU_DEP_4)
	v_fma_f64 v[18:19], v[48:49], s[38:39], v[46:47]
	v_fma_f64 v[50:51], v[48:49], s[28:29], v[46:47]
	v_add_f64_e32 v[16:17], v[16:17], v[197:198]
	s_delay_alu instid0(VALU_DEP_4)
	v_add_f64_e32 v[28:29], v[28:29], v[191:192]
	v_mul_f64_e32 v[191:192], s[16:17], v[12:13]
	v_add_f64_e32 v[6:7], v[18:19], v[6:7]
	v_fma_f64 v[18:19], v[170:171], s[46:47], v[30:31]
	v_add_f64_e32 v[16:17], v[36:37], v[16:17]
	v_mul_f64_e32 v[36:37], s[18:19], v[211:212]
	v_add_f64_e32 v[2:3], v[50:51], v[2:3]
	v_fma_f64 v[30:31], v[170:171], s[34:35], v[30:31]
	v_add_f64_e32 v[28:29], v[32:33], v[28:29]
	v_add_f64_e32 v[18:19], v[18:19], v[195:196]
	v_fma_f64 v[40:41], v[199:200], s[2:3], v[36:37]
	v_fma_f64 v[32:33], v[199:200], s[42:43], v[36:37]
	v_add_f64_e32 v[30:31], v[30:31], v[189:190]
	v_mul_f64_e32 v[189:190], s[22:23], v[211:212]
	s_delay_alu instid0(VALU_DEP_4) | instskip(SKIP_1) | instid1(VALU_DEP_4)
	v_add_f64_e32 v[18:19], v[40:41], v[18:19]
	v_mul_f64_e32 v[40:41], s[38:39], v[12:13]
	v_add_f64_e32 v[30:31], v[32:33], v[30:31]
	s_delay_alu instid0(VALU_DEP_2) | instskip(SKIP_2) | instid1(VALU_DEP_3)
	v_fma_f64 v[46:47], v[8:9], s[22:23], v[40:41]
	v_fma_f64 v[32:33], v[8:9], s[22:23], -v[40:41]
	v_mul_f64_e32 v[40:41], s[24:25], v[183:184]
	v_add_f64_e32 v[16:17], v[46:47], v[16:17]
	v_mul_f64_e32 v[46:47], s[22:23], v[14:15]
	s_delay_alu instid0(VALU_DEP_4) | instskip(NEXT) | instid1(VALU_DEP_2)
	v_add_f64_e32 v[28:29], v[32:33], v[28:29]
	v_fma_f64 v[50:51], v[10:11], s[28:29], v[46:47]
	v_fma_f64 v[32:33], v[10:11], s[38:39], v[46:47]
	;; [unrolled: 1-line block ×4, first 2 shown]
	s_delay_alu instid0(VALU_DEP_4) | instskip(SKIP_4) | instid1(VALU_DEP_4)
	v_add_f64_e32 v[18:19], v[50:51], v[18:19]
	v_mul_f64_e32 v[50:51], s[26:27], v[24:25]
	v_add_f64_e32 v[30:31], v[32:33], v[30:31]
	v_add_f64_e32 v[46:47], v[46:47], v[185:186]
	;; [unrolled: 1-line block ×3, first 2 shown]
	v_fma_f64 v[195:196], v[20:21], s[20:21], v[50:51]
	v_fma_f64 v[32:33], v[20:21], s[20:21], -v[50:51]
	v_mul_f64_e32 v[50:51], s[38:39], v[205:206]
	s_delay_alu instid0(VALU_DEP_3) | instskip(SKIP_1) | instid1(VALU_DEP_4)
	v_add_f64_e32 v[16:17], v[195:196], v[16:17]
	v_mul_f64_e32 v[195:196], s[20:21], v[26:27]
	v_add_f64_e32 v[28:29], v[32:33], v[28:29]
	s_delay_alu instid0(VALU_DEP_4) | instskip(NEXT) | instid1(VALU_DEP_3)
	v_fma_f64 v[185:186], v[193:194], s[22:23], v[50:51]
	v_fma_f64 v[197:198], v[22:23], s[44:45], v[195:196]
	;; [unrolled: 1-line block ×3, first 2 shown]
	v_mul_f64_e32 v[195:196], s[12:13], v[14:15]
	s_delay_alu instid0(VALU_DEP_3) | instskip(SKIP_1) | instid1(VALU_DEP_4)
	v_add_f64_e32 v[18:19], v[197:198], v[18:19]
	v_mul_f64_e32 v[197:198], s[14:15], v[42:43]
	v_add_f64_e32 v[30:31], v[32:33], v[30:31]
	s_delay_alu instid0(VALU_DEP_2) | instskip(SKIP_2) | instid1(VALU_DEP_3)
	v_fma_f64 v[201:202], v[44:45], s[24:25], v[197:198]
	v_fma_f64 v[32:33], v[44:45], s[24:25], -v[197:198]
	v_mul_f64_e32 v[197:198], s[46:47], v[24:25]
	v_add_f64_e32 v[16:17], v[201:202], v[16:17]
	v_mul_f64_e32 v[201:202], s[24:25], v[38:39]
	s_delay_alu instid0(VALU_DEP_4) | instskip(SKIP_1) | instid1(VALU_DEP_3)
	v_add_f64_e32 v[28:29], v[32:33], v[28:29]
	v_mul_f64_e32 v[32:33], s[40:41], v[181:182]
	v_fma_f64 v[36:37], v[48:49], s[14:15], v[201:202]
	v_fma_f64 v[203:204], v[48:49], s[40:41], v[201:202]
	v_mul_f64_e32 v[201:202], s[30:31], v[26:27]
	s_delay_alu instid0(VALU_DEP_3) | instskip(SKIP_1) | instid1(VALU_DEP_4)
	v_add_f64_e32 v[30:31], v[36:37], v[30:31]
	v_fma_f64 v[36:37], v[168:169], s[24:25], v[32:33]
	v_add_f64_e32 v[18:19], v[203:204], v[18:19]
	v_mul_f64_e32 v[203:204], s[44:45], v[42:43]
	v_fma_f64 v[32:33], v[168:169], s[24:25], -v[32:33]
	s_delay_alu instid0(VALU_DEP_4) | instskip(NEXT) | instid1(VALU_DEP_2)
	v_add_f64_e32 v[36:37], v[36:37], v[187:188]
	v_add_f64_e32 v[32:33], v[32:33], v[178:179]
	s_delay_alu instid0(VALU_DEP_2) | instskip(SKIP_1) | instid1(VALU_DEP_1)
	v_add_f64_e32 v[36:37], v[185:186], v[36:37]
	v_fma_f64 v[185:186], v[199:200], s[28:29], v[189:190]
	v_add_f64_e32 v[46:47], v[185:186], v[46:47]
	v_fma_f64 v[185:186], v[8:9], s[12:13], v[191:192]
	s_delay_alu instid0(VALU_DEP_1) | instskip(SKIP_1) | instid1(VALU_DEP_1)
	v_add_f64_e32 v[36:37], v[185:186], v[36:37]
	v_fma_f64 v[185:186], v[10:11], s[36:37], v[195:196]
	v_add_f64_e32 v[46:47], v[185:186], v[46:47]
	v_fma_f64 v[185:186], v[20:21], s[30:31], v[197:198]
	s_delay_alu instid0(VALU_DEP_1) | instskip(SKIP_1) | instid1(VALU_DEP_1)
	;; [unrolled: 5-line block ×3, first 2 shown]
	v_add_f64_e32 v[185:186], v[185:186], v[36:37]
	v_mul_f64_e32 v[36:37], s[20:21], v[38:39]
	v_fma_f64 v[187:188], v[48:49], s[26:27], v[36:37]
	v_fma_f64 v[36:37], v[48:49], s[44:45], v[36:37]
	s_delay_alu instid0(VALU_DEP_2) | instskip(SKIP_2) | instid1(VALU_DEP_2)
	v_add_f64_e32 v[187:188], v[187:188], v[46:47]
	v_fma_f64 v[46:47], v[193:194], s[22:23], -v[50:51]
	v_mul_f64_e32 v[50:51], s[26:27], v[205:206]
	v_add_f64_e32 v[32:33], v[46:47], v[32:33]
	v_fma_f64 v[46:47], v[199:200], s[38:39], v[189:190]
	v_mul_f64_e32 v[189:190], s[20:21], v[211:212]
	s_delay_alu instid0(VALU_DEP_2) | instskip(SKIP_2) | instid1(VALU_DEP_2)
	v_add_f64_e32 v[40:41], v[46:47], v[40:41]
	v_fma_f64 v[46:47], v[8:9], s[12:13], -v[191:192]
	v_mul_f64_e32 v[191:192], s[46:47], v[12:13]
	v_add_f64_e32 v[32:33], v[46:47], v[32:33]
	v_fma_f64 v[46:47], v[10:11], s[16:17], v[195:196]
	v_mul_f64_e32 v[195:196], s[30:31], v[14:15]
	s_delay_alu instid0(VALU_DEP_2) | instskip(SKIP_3) | instid1(VALU_DEP_3)
	v_add_f64_e32 v[40:41], v[46:47], v[40:41]
	v_fma_f64 v[46:47], v[20:21], s[30:31], -v[197:198]
	v_mul_f64_e32 v[197:198], s[38:39], v[24:25]
	v_mul_f64_e32 v[24:25], s[2:3], v[24:25]
	v_add_f64_e32 v[32:33], v[46:47], v[32:33]
	v_fma_f64 v[46:47], v[22:23], s[46:47], v[201:202]
	v_mul_f64_e32 v[201:202], s[22:23], v[26:27]
	v_mul_f64_e32 v[26:27], s[18:19], v[26:27]
	s_delay_alu instid0(VALU_DEP_3) | instskip(SKIP_3) | instid1(VALU_DEP_4)
	v_add_f64_e32 v[40:41], v[46:47], v[40:41]
	v_fma_f64 v[46:47], v[44:45], s[20:21], -v[203:204]
	v_mul_f64_e32 v[203:204], s[2:3], v[42:43]
	v_mul_f64_e32 v[42:43], s[36:37], v[42:43]
	v_add_f64_e32 v[178:179], v[36:37], v[40:41]
	s_delay_alu instid0(VALU_DEP_4) | instskip(SKIP_2) | instid1(VALU_DEP_2)
	v_add_f64_e32 v[176:177], v[46:47], v[32:33]
	v_mul_f64_e32 v[32:33], s[36:37], v[181:182]
	v_mul_f64_e32 v[40:41], s[12:13], v[183:184]
	v_fma_f64 v[36:37], v[168:169], s[12:13], v[32:33]
	s_delay_alu instid0(VALU_DEP_2) | instskip(SKIP_2) | instid1(VALU_DEP_4)
	v_fma_f64 v[46:47], v[170:171], s[16:17], v[40:41]
	v_fma_f64 v[32:33], v[168:169], s[12:13], -v[32:33]
	v_fma_f64 v[40:41], v[170:171], s[36:37], v[40:41]
	v_add_f64_e32 v[36:37], v[36:37], v[174:175]
	s_delay_alu instid0(VALU_DEP_4) | instskip(SKIP_3) | instid1(VALU_DEP_3)
	v_add_f64_e32 v[46:47], v[46:47], v[172:173]
	v_fma_f64 v[172:173], v[193:194], s[20:21], v[50:51]
	v_add_f64_e32 v[32:33], v[32:33], v[166:167]
	v_add_f64_e32 v[40:41], v[40:41], v[164:165]
	;; [unrolled: 1-line block ×3, first 2 shown]
	v_fma_f64 v[172:173], v[199:200], s[44:45], v[189:190]
	s_delay_alu instid0(VALU_DEP_1) | instskip(SKIP_1) | instid1(VALU_DEP_1)
	v_add_f64_e32 v[46:47], v[172:173], v[46:47]
	v_fma_f64 v[172:173], v[8:9], s[30:31], v[191:192]
	v_add_f64_e32 v[36:37], v[172:173], v[36:37]
	v_fma_f64 v[172:173], v[10:11], s[34:35], v[195:196]
	s_delay_alu instid0(VALU_DEP_1) | instskip(SKIP_1) | instid1(VALU_DEP_1)
	v_add_f64_e32 v[46:47], v[172:173], v[46:47]
	v_fma_f64 v[172:173], v[20:21], s[22:23], v[197:198]
	v_add_f64_e32 v[36:37], v[172:173], v[36:37]
	;; [unrolled: 5-line block ×3, first 2 shown]
	v_mul_f64_e32 v[36:37], s[18:19], v[38:39]
	v_mul_f64_e32 v[38:39], s[12:13], v[38:39]
	s_delay_alu instid0(VALU_DEP_2) | instskip(SKIP_1) | instid1(VALU_DEP_2)
	v_fma_f64 v[174:175], v[48:49], s[42:43], v[36:37]
	v_fma_f64 v[36:37], v[48:49], s[2:3], v[36:37]
	v_add_f64_e32 v[174:175], v[174:175], v[46:47]
	v_fma_f64 v[46:47], v[193:194], s[20:21], -v[50:51]
	v_mul_f64_e32 v[50:51], s[14:15], v[205:206]
	s_delay_alu instid0(VALU_DEP_2) | instskip(SKIP_1) | instid1(VALU_DEP_1)
	v_add_f64_e32 v[32:33], v[46:47], v[32:33]
	v_fma_f64 v[46:47], v[199:200], s[26:27], v[189:190]
	v_add_f64_e32 v[40:41], v[46:47], v[40:41]
	v_fma_f64 v[46:47], v[8:9], s[30:31], -v[191:192]
	s_delay_alu instid0(VALU_DEP_1) | instskip(SKIP_1) | instid1(VALU_DEP_1)
	v_add_f64_e32 v[32:33], v[46:47], v[32:33]
	v_fma_f64 v[46:47], v[10:11], s[46:47], v[195:196]
	v_add_f64_e32 v[40:41], v[46:47], v[40:41]
	v_fma_f64 v[46:47], v[20:21], s[22:23], -v[197:198]
	s_delay_alu instid0(VALU_DEP_1) | instskip(SKIP_1) | instid1(VALU_DEP_1)
	v_add_f64_e32 v[32:33], v[46:47], v[32:33]
	v_fma_f64 v[46:47], v[22:23], s[38:39], v[201:202]
	v_add_f64_e32 v[40:41], v[46:47], v[40:41]
	v_fma_f64 v[46:47], v[44:45], s[18:19], -v[203:204]
	s_delay_alu instid0(VALU_DEP_2) | instskip(NEXT) | instid1(VALU_DEP_2)
	v_add_f64_e32 v[166:167], v[36:37], v[40:41]
	v_add_f64_e32 v[164:165], v[46:47], v[32:33]
	v_mul_f64_e32 v[32:33], s[38:39], v[181:182]
	v_mul_f64_e32 v[40:41], s[22:23], v[183:184]
	s_delay_alu instid0(VALU_DEP_2) | instskip(NEXT) | instid1(VALU_DEP_2)
	v_fma_f64 v[36:37], v[168:169], s[22:23], v[32:33]
	v_fma_f64 v[46:47], v[170:171], s[28:29], v[40:41]
	v_fma_f64 v[32:33], v[168:169], s[22:23], -v[32:33]
	v_fma_f64 v[40:41], v[170:171], s[38:39], v[40:41]
	s_delay_alu instid0(VALU_DEP_4) | instskip(NEXT) | instid1(VALU_DEP_4)
	v_add_f64_e32 v[36:37], v[36:37], v[162:163]
	v_add_f64_e32 v[46:47], v[46:47], v[160:161]
	v_fma_f64 v[160:161], v[193:194], s[24:25], v[50:51]
	v_add_f64_e32 v[32:33], v[32:33], v[156:157]
	v_add_f64_e32 v[40:41], v[40:41], v[158:159]
	s_delay_alu instid0(VALU_DEP_3) | instskip(SKIP_1) | instid1(VALU_DEP_1)
	v_add_f64_e32 v[36:37], v[160:161], v[36:37]
	v_mul_f64_e32 v[160:161], s[24:25], v[211:212]
	v_fma_f64 v[162:163], v[199:200], s[40:41], v[160:161]
	s_delay_alu instid0(VALU_DEP_1) | instskip(SKIP_1) | instid1(VALU_DEP_1)
	v_add_f64_e32 v[46:47], v[162:163], v[46:47]
	v_mul_f64_e32 v[162:163], s[44:45], v[12:13]
	v_fma_f64 v[12:13], v[8:9], s[20:21], v[162:163]
	v_fma_f64 v[8:9], v[8:9], s[20:21], -v[162:163]
	s_delay_alu instid0(VALU_DEP_2) | instskip(SKIP_1) | instid1(VALU_DEP_1)
	v_add_f64_e32 v[12:13], v[12:13], v[36:37]
	v_mul_f64_e32 v[36:37], s[20:21], v[14:15]
	v_fma_f64 v[14:15], v[10:11], s[26:27], v[36:37]
	v_fma_f64 v[10:11], v[10:11], s[44:45], v[36:37]
	s_delay_alu instid0(VALU_DEP_2) | instskip(SKIP_3) | instid1(VALU_DEP_3)
	v_add_f64_e32 v[14:15], v[14:15], v[46:47]
	v_fma_f64 v[46:47], v[20:21], s[18:19], v[24:25]
	v_fma_f64 v[20:21], v[20:21], s[18:19], -v[24:25]
	v_fma_f64 v[24:25], v[44:45], s[12:13], -v[42:43]
	v_add_f64_e32 v[12:13], v[46:47], v[12:13]
	v_fma_f64 v[46:47], v[22:23], s[42:43], v[26:27]
	v_fma_f64 v[22:23], v[22:23], s[2:3], v[26:27]
	v_fma_f64 v[26:27], v[48:49], s[36:37], v[38:39]
	s_delay_alu instid0(VALU_DEP_3) | instskip(SKIP_1) | instid1(VALU_DEP_1)
	v_add_f64_e32 v[14:15], v[46:47], v[14:15]
	v_fma_f64 v[46:47], v[44:45], s[12:13], v[42:43]
	v_add_f64_e32 v[12:13], v[46:47], v[12:13]
	v_fma_f64 v[46:47], v[48:49], s[16:17], v[38:39]
	s_delay_alu instid0(VALU_DEP_1) | instskip(SKIP_2) | instid1(VALU_DEP_2)
	v_add_f64_e32 v[14:15], v[46:47], v[14:15]
	v_fma_f64 v[46:47], v[193:194], s[24:25], -v[50:51]
	v_fma_f64 v[50:51], v[199:200], s[14:15], v[160:161]
	v_add_f64_e32 v[32:33], v[46:47], v[32:33]
	s_delay_alu instid0(VALU_DEP_2) | instskip(NEXT) | instid1(VALU_DEP_2)
	v_add_f64_e32 v[36:37], v[50:51], v[40:41]
	v_add_f64_e32 v[8:9], v[8:9], v[32:33]
	s_delay_alu instid0(VALU_DEP_2) | instskip(NEXT) | instid1(VALU_DEP_2)
	v_add_f64_e32 v[10:11], v[10:11], v[36:37]
	v_add_f64_e32 v[8:9], v[20:21], v[8:9]
	s_delay_alu instid0(VALU_DEP_2) | instskip(SKIP_2) | instid1(VALU_DEP_4)
	v_add_f64_e32 v[10:11], v[22:23], v[10:11]
	v_add_f64_e32 v[20:21], v[98:99], v[148:149]
	;; [unrolled: 1-line block ×4, first 2 shown]
	s_delay_alu instid0(VALU_DEP_4) | instskip(NEXT) | instid1(VALU_DEP_4)
	v_add_f64_e32 v[10:11], v[26:27], v[10:11]
	v_add_f64_e32 v[20:21], v[20:21], v[152:153]
	s_delay_alu instid0(VALU_DEP_4) | instskip(NEXT) | instid1(VALU_DEP_2)
	v_add_f64_e32 v[22:23], v[22:23], v[80:81]
	v_add_f64_e32 v[20:21], v[20:21], v[82:83]
	s_delay_alu instid0(VALU_DEP_2) | instskip(NEXT) | instid1(VALU_DEP_2)
	v_add_f64_e32 v[22:23], v[22:23], v[68:69]
	v_add_f64_e32 v[20:21], v[20:21], v[70:71]
	s_delay_alu instid0(VALU_DEP_2) | instskip(NEXT) | instid1(VALU_DEP_2)
	;; [unrolled: 3-line block ×8, first 2 shown]
	v_add_f64_e32 v[22:23], v[22:23], v[104:105]
	v_add_f64_e32 v[20:21], v[20:21], v[96:97]
	s_delay_alu instid0(VALU_DEP_2)
	v_add_f64_e32 v[22:23], v[22:23], v[106:107]
	ds_store_b128 v180, v[0:3] offset:416
	ds_store_b128 v180, v[16:19] offset:624
	;; [unrolled: 1-line block ×12, first 2 shown]
	ds_store_b128 v180, v[20:23]
	global_wb scope:SCOPE_SE
	s_wait_dscnt 0x0
	s_barrier_signal -1
	s_barrier_wait -1
	global_inv scope:SCOPE_SE
	ds_load_b128 v[0:3], v35 offset:2704
	ds_load_b128 v[4:7], v35
	s_wait_dscnt 0x1
	v_mul_f64_e32 v[8:9], v[66:67], v[2:3]
	s_delay_alu instid0(VALU_DEP_1) | instskip(SKIP_2) | instid1(VALU_DEP_2)
	v_fma_f64 v[12:13], v[64:65], v[0:1], v[8:9]
	v_mul_f64_e32 v[0:1], v[66:67], v[0:1]
	s_wait_dscnt 0x0
	v_add_f64_e32 v[96:97], v[4:5], v[12:13]
	s_delay_alu instid0(VALU_DEP_2)
	v_fma_f64 v[14:15], v[64:65], v[2:3], -v[0:1]
	ds_load_b128 v[0:3], v35 offset:5408
	ds_load_b128 v[8:11], v35 offset:8112
	s_wait_dscnt 0x1
	v_mul_f64_e32 v[16:17], v[62:63], v[2:3]
	v_add_f64_e32 v[98:99], v[6:7], v[14:15]
	s_delay_alu instid0(VALU_DEP_2) | instskip(SKIP_1) | instid1(VALU_DEP_1)
	v_fma_f64 v[52:53], v[60:61], v[0:1], v[16:17]
	v_mul_f64_e32 v[0:1], v[62:63], v[0:1]
	v_fma_f64 v[54:55], v[60:61], v[2:3], -v[0:1]
	s_wait_dscnt 0x0
	v_mul_f64_e32 v[0:1], v[122:123], v[10:11]
	s_delay_alu instid0(VALU_DEP_1) | instskip(SKIP_1) | instid1(VALU_DEP_1)
	v_fma_f64 v[56:57], v[120:121], v[8:9], v[0:1]
	v_mul_f64_e32 v[0:1], v[122:123], v[8:9]
	v_fma_f64 v[58:59], v[120:121], v[10:11], -v[0:1]
	ds_load_b128 v[0:3], v35 offset:10816
	ds_load_b128 v[8:11], v35 offset:13520
	s_wait_dscnt 0x1
	v_mul_f64_e32 v[16:17], v[110:111], v[2:3]
	s_delay_alu instid0(VALU_DEP_1) | instskip(SKIP_1) | instid1(VALU_DEP_1)
	v_fma_f64 v[60:61], v[108:109], v[0:1], v[16:17]
	v_mul_f64_e32 v[0:1], v[110:111], v[0:1]
	v_fma_f64 v[62:63], v[108:109], v[2:3], -v[0:1]
	s_wait_dscnt 0x0
	v_mul_f64_e32 v[0:1], v[130:131], v[10:11]
	s_delay_alu instid0(VALU_DEP_1) | instskip(SKIP_1) | instid1(VALU_DEP_1)
	v_fma_f64 v[64:65], v[128:129], v[8:9], v[0:1]
	v_mul_f64_e32 v[0:1], v[130:131], v[8:9]
	v_fma_f64 v[66:67], v[128:129], v[10:11], -v[0:1]
	ds_load_b128 v[0:3], v35 offset:16224
	ds_load_b128 v[8:11], v35 offset:18928
	s_wait_dscnt 0x1
	v_mul_f64_e32 v[16:17], v[114:115], v[2:3]
	s_delay_alu instid0(VALU_DEP_1) | instskip(SKIP_1) | instid1(VALU_DEP_1)
	;; [unrolled: 14-line block ×3, first 2 shown]
	v_fma_f64 v[76:77], v[116:117], v[0:1], v[16:17]
	v_mul_f64_e32 v[0:1], v[118:119], v[0:1]
	v_fma_f64 v[78:79], v[116:117], v[2:3], -v[0:1]
	s_wait_dscnt 0x0
	v_mul_f64_e32 v[0:1], v[142:143], v[10:11]
	s_delay_alu instid0(VALU_DEP_1) | instskip(SKIP_1) | instid1(VALU_DEP_2)
	v_fma_f64 v[80:81], v[140:141], v[8:9], v[0:1]
	v_mul_f64_e32 v[0:1], v[142:143], v[8:9]
	v_add_f64_e32 v[152:153], v[60:61], v[80:81]
	s_delay_alu instid0(VALU_DEP_2)
	v_fma_f64 v[82:83], v[140:141], v[10:11], -v[0:1]
	ds_load_b128 v[0:3], v35 offset:27040
	ds_load_b128 v[8:11], v35 offset:29744
	v_add_f64_e64 v[158:159], v[60:61], -v[80:81]
	s_wait_dscnt 0x1
	v_mul_f64_e32 v[16:17], v[126:127], v[2:3]
	v_add_f64_e64 v[160:161], v[62:63], -v[82:83]
	v_add_f64_e32 v[162:163], v[62:63], v[82:83]
	s_delay_alu instid0(VALU_DEP_3) | instskip(SKIP_1) | instid1(VALU_DEP_2)
	v_fma_f64 v[84:85], v[124:125], v[0:1], v[16:17]
	v_mul_f64_e32 v[0:1], v[126:127], v[0:1]
	v_add_f64_e32 v[128:129], v[56:57], v[84:85]
	s_delay_alu instid0(VALU_DEP_2) | instskip(SKIP_3) | instid1(VALU_DEP_2)
	v_fma_f64 v[86:87], v[124:125], v[2:3], -v[0:1]
	s_wait_dscnt 0x0
	v_mul_f64_e32 v[0:1], v[146:147], v[10:11]
	v_add_f64_e64 v[130:131], v[56:57], -v[84:85]
	v_fma_f64 v[88:89], v[144:145], v[8:9], v[0:1]
	v_mul_f64_e32 v[0:1], v[146:147], v[8:9]
	v_add_f64_e32 v[146:147], v[58:59], v[86:87]
	s_delay_alu instid0(VALU_DEP_2)
	v_fma_f64 v[90:91], v[144:145], v[10:11], -v[0:1]
	ds_load_b128 v[0:3], v35 offset:32448
	v_add_f64_e64 v[144:145], v[58:59], -v[86:87]
	s_wait_dscnt 0x0
	v_mul_f64_e32 v[8:9], v[138:139], v[0:1]
	v_add_f64_e64 v[120:121], v[54:55], -v[90:91]
	v_add_f64_e32 v[122:123], v[54:55], v[90:91]
	s_delay_alu instid0(VALU_DEP_3) | instskip(SKIP_1) | instid1(VALU_DEP_1)
	v_fma_f64 v[92:93], v[136:137], v[2:3], -v[8:9]
	v_mul_f64_e32 v[2:3], v[138:139], v[2:3]
	v_fma_f64 v[94:95], v[136:137], v[0:1], v[2:3]
	s_delay_alu instid0(VALU_DEP_3) | instskip(NEXT) | instid1(VALU_DEP_2)
	v_add_f64_e64 v[0:1], v[14:15], -v[92:93]
	v_add_f64_e32 v[20:21], v[12:13], v[94:95]
	s_delay_alu instid0(VALU_DEP_2)
	v_mul_f64_e32 v[2:3], s[28:29], v[0:1]
	v_mul_f64_e32 v[8:9], s[26:27], v[0:1]
	;; [unrolled: 1-line block ×6, first 2 shown]
	v_add_f64_e64 v[46:47], v[12:13], -v[94:95]
	v_fma_f64 v[22:23], v[20:21], s[22:23], v[2:3]
	v_fma_f64 v[2:3], v[20:21], s[22:23], -v[2:3]
	v_fma_f64 v[24:25], v[20:21], s[20:21], v[8:9]
	v_fma_f64 v[8:9], v[20:21], s[20:21], -v[8:9]
	;; [unrolled: 2-line block ×6, first 2 shown]
	v_add_f64_e32 v[0:1], v[14:15], v[92:93]
	v_add_f64_e32 v[12:13], v[4:5], v[22:23]
	;; [unrolled: 1-line block ×12, first 2 shown]
	v_mul_f64_e32 v[24:25], s[2:3], v[160:161]
	v_mul_f64_e32 v[40:41], s[12:13], v[0:1]
	;; [unrolled: 1-line block ×8, first 2 shown]
	v_fma_f64 v[100:101], v[46:47], s[36:37], v[40:41]
	v_fma_f64 v[104:105], v[46:47], s[40:41], v[44:45]
	v_fma_f64 v[48:49], v[46:47], s[38:39], v[36:37]
	v_fma_f64 v[36:37], v[46:47], s[28:29], v[36:37]
	v_fma_f64 v[50:51], v[46:47], s[44:45], v[38:39]
	v_fma_f64 v[38:39], v[46:47], s[26:27], v[38:39]
	v_fma_f64 v[40:41], v[46:47], s[16:17], v[40:41]
	v_fma_f64 v[102:103], v[46:47], s[42:43], v[42:43]
	v_fma_f64 v[42:43], v[46:47], s[2:3], v[42:43]
	v_fma_f64 v[44:45], v[46:47], s[14:15], v[44:45]
	v_fma_f64 v[106:107], v[46:47], s[46:47], v[0:1]
	v_fma_f64 v[46:47], v[46:47], s[34:35], v[0:1]
	v_add_f64_e32 v[140:141], v[6:7], v[100:101]
	v_add_f64_e32 v[116:117], v[6:7], v[104:105]
	;; [unrolled: 1-line block ×4, first 2 shown]
	v_mul_f64_e32 v[4:5], s[26:27], v[120:121]
	v_add_f64_e32 v[14:15], v[6:7], v[48:49]
	v_add_f64_e32 v[0:1], v[6:7], v[36:37]
	;; [unrolled: 1-line block ×10, first 2 shown]
	v_add_f64_e64 v[106:107], v[52:53], -v[88:89]
	v_add_f64_e64 v[36:37], v[70:71], -v[74:75]
	v_add_f64_e32 v[42:43], v[70:71], v[74:75]
	v_add_f64_e32 v[38:39], v[68:69], v[72:73]
	v_add_f64_e64 v[44:45], v[68:69], -v[72:73]
	v_fma_f64 v[6:7], v[104:105], s[20:21], v[4:5]
	v_fma_f64 v[4:5], v[104:105], s[20:21], -v[4:5]
	v_mul_f64_e32 v[40:41], s[34:35], v[36:37]
	v_mul_f64_e32 v[46:47], s[30:31], v[42:43]
	s_delay_alu instid0(VALU_DEP_4) | instskip(SKIP_2) | instid1(VALU_DEP_2)
	v_add_f64_e32 v[10:11], v[6:7], v[12:13]
	v_mul_f64_e32 v[6:7], s[20:21], v[122:123]
	v_add_f64_e32 v[2:3], v[4:5], v[2:3]
	v_fma_f64 v[8:9], v[106:107], s[44:45], v[6:7]
	v_fma_f64 v[4:5], v[106:107], s[26:27], v[6:7]
	v_fma_f64 v[6:7], v[44:45], s[34:35], v[46:47]
	s_delay_alu instid0(VALU_DEP_3) | instskip(SKIP_1) | instid1(VALU_DEP_4)
	v_add_f64_e32 v[12:13], v[8:9], v[14:15]
	v_mul_f64_e32 v[8:9], s[16:17], v[144:145]
	v_add_f64_e32 v[0:1], v[4:5], v[0:1]
	s_delay_alu instid0(VALU_DEP_2) | instskip(SKIP_2) | instid1(VALU_DEP_3)
	v_fma_f64 v[14:15], v[128:129], s[12:13], v[8:9]
	v_fma_f64 v[4:5], v[128:129], s[12:13], -v[8:9]
	v_mul_f64_e32 v[8:9], s[2:3], v[120:121]
	v_add_f64_e32 v[14:15], v[14:15], v[10:11]
	v_mul_f64_e32 v[10:11], s[12:13], v[146:147]
	s_delay_alu instid0(VALU_DEP_4) | instskip(NEXT) | instid1(VALU_DEP_2)
	v_add_f64_e32 v[2:3], v[4:5], v[2:3]
	v_fma_f64 v[16:17], v[130:131], s[36:37], v[10:11]
	v_fma_f64 v[4:5], v[130:131], s[16:17], v[10:11]
	v_mul_f64_e32 v[10:11], s[18:19], v[122:123]
	s_delay_alu instid0(VALU_DEP_3) | instskip(SKIP_1) | instid1(VALU_DEP_4)
	v_add_f64_e32 v[12:13], v[16:17], v[12:13]
	v_fma_f64 v[16:17], v[152:153], s[18:19], v[24:25]
	v_add_f64_e32 v[0:1], v[4:5], v[0:1]
	v_fma_f64 v[4:5], v[152:153], s[18:19], -v[24:25]
	v_mul_f64_e32 v[24:25], s[34:35], v[144:145]
	s_delay_alu instid0(VALU_DEP_4) | instskip(SKIP_1) | instid1(VALU_DEP_4)
	v_add_f64_e32 v[14:15], v[16:17], v[14:15]
	v_fma_f64 v[16:17], v[158:159], s[42:43], v[26:27]
	v_add_f64_e32 v[2:3], v[4:5], v[2:3]
	v_fma_f64 v[4:5], v[158:159], s[2:3], v[26:27]
	v_fma_f64 v[26:27], v[128:129], s[30:31], v[24:25]
	v_fma_f64 v[24:25], v[128:129], s[30:31], -v[24:25]
	v_add_f64_e32 v[20:21], v[16:17], v[12:13]
	v_add_f64_e64 v[16:17], v[66:67], -v[78:79]
	v_add_f64_e32 v[12:13], v[64:65], v[76:77]
	v_add_f64_e32 v[0:1], v[4:5], v[0:1]
	s_delay_alu instid0(VALU_DEP_3) | instskip(NEXT) | instid1(VALU_DEP_1)
	v_mul_f64_e32 v[28:29], s[14:15], v[16:17]
	v_fma_f64 v[18:19], v[12:13], s[24:25], v[28:29]
	v_fma_f64 v[4:5], v[12:13], s[24:25], -v[28:29]
	s_delay_alu instid0(VALU_DEP_2) | instskip(SKIP_2) | instid1(VALU_DEP_4)
	v_add_f64_e32 v[22:23], v[18:19], v[14:15]
	v_add_f64_e32 v[18:19], v[66:67], v[78:79]
	v_add_f64_e64 v[14:15], v[64:65], -v[76:77]
	v_add_f64_e32 v[2:3], v[4:5], v[2:3]
	s_delay_alu instid0(VALU_DEP_3) | instskip(NEXT) | instid1(VALU_DEP_1)
	v_mul_f64_e32 v[30:31], s[24:25], v[18:19]
	v_fma_f64 v[4:5], v[14:15], s[14:15], v[30:31]
	v_fma_f64 v[32:33], v[14:15], s[40:41], v[30:31]
	s_delay_alu instid0(VALU_DEP_2) | instskip(SKIP_1) | instid1(VALU_DEP_3)
	v_add_f64_e32 v[4:5], v[4:5], v[0:1]
	v_fma_f64 v[0:1], v[38:39], s[30:31], -v[40:41]
	v_add_f64_e32 v[32:33], v[32:33], v[20:21]
	v_fma_f64 v[20:21], v[38:39], s[30:31], v[40:41]
	s_delay_alu instid0(VALU_DEP_3)
	v_add_f64_e32 v[0:1], v[0:1], v[2:3]
	v_add_f64_e32 v[2:3], v[6:7], v[4:5]
	v_fma_f64 v[4:5], v[104:105], s[18:19], v[8:9]
	v_fma_f64 v[6:7], v[106:107], s[42:43], v[10:11]
	v_add_f64_e32 v[20:21], v[20:21], v[22:23]
	v_fma_f64 v[22:23], v[44:45], s[46:47], v[46:47]
	v_fma_f64 v[8:9], v[104:105], s[18:19], -v[8:9]
	v_fma_f64 v[10:11], v[106:107], s[2:3], v[10:11]
	v_add_f64_e32 v[4:5], v[4:5], v[156:157]
	v_add_f64_e32 v[6:7], v[6:7], v[154:155]
	;; [unrolled: 1-line block ×6, first 2 shown]
	v_mul_f64_e32 v[26:27], s[30:31], v[146:147]
	s_delay_alu instid0(VALU_DEP_4) | instskip(NEXT) | instid1(VALU_DEP_2)
	v_add_f64_e32 v[8:9], v[24:25], v[8:9]
	v_fma_f64 v[28:29], v[130:131], s[46:47], v[26:27]
	v_fma_f64 v[24:25], v[130:131], s[34:35], v[26:27]
	s_delay_alu instid0(VALU_DEP_2) | instskip(SKIP_1) | instid1(VALU_DEP_3)
	v_add_f64_e32 v[6:7], v[28:29], v[6:7]
	v_mul_f64_e32 v[28:29], s[40:41], v[160:161]
	v_add_f64_e32 v[10:11], v[24:25], v[10:11]
	s_delay_alu instid0(VALU_DEP_2) | instskip(SKIP_2) | instid1(VALU_DEP_3)
	v_fma_f64 v[30:31], v[152:153], s[24:25], v[28:29]
	v_fma_f64 v[24:25], v[152:153], s[24:25], -v[28:29]
	v_mul_f64_e32 v[28:29], s[34:35], v[120:121]
	v_add_f64_e32 v[4:5], v[30:31], v[4:5]
	v_mul_f64_e32 v[30:31], s[24:25], v[162:163]
	s_delay_alu instid0(VALU_DEP_4) | instskip(NEXT) | instid1(VALU_DEP_2)
	v_add_f64_e32 v[8:9], v[24:25], v[8:9]
	v_fma_f64 v[32:33], v[158:159], s[14:15], v[30:31]
	v_fma_f64 v[24:25], v[158:159], s[40:41], v[30:31]
	v_mul_f64_e32 v[30:31], s[30:31], v[122:123]
	s_delay_alu instid0(VALU_DEP_3) | instskip(SKIP_1) | instid1(VALU_DEP_4)
	v_add_f64_e32 v[6:7], v[32:33], v[6:7]
	v_mul_f64_e32 v[32:33], s[36:37], v[16:17]
	v_add_f64_e32 v[10:11], v[24:25], v[10:11]
	s_delay_alu instid0(VALU_DEP_2) | instskip(SKIP_2) | instid1(VALU_DEP_3)
	v_fma_f64 v[40:41], v[12:13], s[12:13], v[32:33]
	v_fma_f64 v[24:25], v[12:13], s[12:13], -v[32:33]
	v_mul_f64_e32 v[32:33], s[42:43], v[144:145]
	v_add_f64_e32 v[4:5], v[40:41], v[4:5]
	v_mul_f64_e32 v[40:41], s[12:13], v[18:19]
	s_delay_alu instid0(VALU_DEP_4) | instskip(NEXT) | instid1(VALU_DEP_2)
	v_add_f64_e32 v[8:9], v[24:25], v[8:9]
	v_fma_f64 v[46:47], v[14:15], s[16:17], v[40:41]
	v_fma_f64 v[24:25], v[14:15], s[36:37], v[40:41]
	;; [unrolled: 1-line block ×3, first 2 shown]
	v_fma_f64 v[32:33], v[128:129], s[18:19], -v[32:33]
	s_delay_alu instid0(VALU_DEP_4) | instskip(SKIP_2) | instid1(VALU_DEP_2)
	v_add_f64_e32 v[6:7], v[46:47], v[6:7]
	v_mul_f64_e32 v[46:47], s[38:39], v[36:37]
	v_add_f64_e32 v[10:11], v[24:25], v[10:11]
	v_fma_f64 v[48:49], v[38:39], s[22:23], v[46:47]
	v_fma_f64 v[24:25], v[38:39], s[22:23], -v[46:47]
	s_delay_alu instid0(VALU_DEP_2) | instskip(SKIP_1) | instid1(VALU_DEP_3)
	v_add_f64_e32 v[4:5], v[48:49], v[4:5]
	v_mul_f64_e32 v[48:49], s[22:23], v[42:43]
	v_add_f64_e32 v[8:9], v[24:25], v[8:9]
	v_fma_f64 v[24:25], v[104:105], s[30:31], v[28:29]
	v_fma_f64 v[28:29], v[104:105], s[30:31], -v[28:29]
	s_delay_alu instid0(VALU_DEP_4) | instskip(SKIP_1) | instid1(VALU_DEP_4)
	v_fma_f64 v[26:27], v[44:45], s[38:39], v[48:49]
	v_fma_f64 v[50:51], v[44:45], s[28:29], v[48:49]
	v_add_f64_e32 v[24:25], v[24:25], v[142:143]
	s_delay_alu instid0(VALU_DEP_4)
	v_add_f64_e32 v[28:29], v[28:29], v[138:139]
	v_mul_f64_e32 v[138:139], s[16:17], v[160:161]
	v_add_f64_e32 v[10:11], v[26:27], v[10:11]
	v_fma_f64 v[26:27], v[106:107], s[46:47], v[30:31]
	v_add_f64_e32 v[24:25], v[40:41], v[24:25]
	v_mul_f64_e32 v[40:41], s[18:19], v[146:147]
	v_add_f64_e32 v[6:7], v[50:51], v[6:7]
	v_fma_f64 v[30:31], v[106:107], s[34:35], v[30:31]
	v_add_f64_e32 v[28:29], v[32:33], v[28:29]
	v_add_f64_e32 v[26:27], v[26:27], v[140:141]
	v_fma_f64 v[46:47], v[130:131], s[2:3], v[40:41]
	v_fma_f64 v[32:33], v[130:131], s[42:43], v[40:41]
	v_add_f64_e32 v[30:31], v[30:31], v[136:137]
	v_mul_f64_e32 v[136:137], s[22:23], v[146:147]
	s_delay_alu instid0(VALU_DEP_4) | instskip(SKIP_1) | instid1(VALU_DEP_4)
	v_add_f64_e32 v[26:27], v[46:47], v[26:27]
	v_mul_f64_e32 v[46:47], s[38:39], v[160:161]
	v_add_f64_e32 v[30:31], v[32:33], v[30:31]
	s_delay_alu instid0(VALU_DEP_2) | instskip(SKIP_2) | instid1(VALU_DEP_3)
	v_fma_f64 v[48:49], v[152:153], s[22:23], v[46:47]
	v_fma_f64 v[32:33], v[152:153], s[22:23], -v[46:47]
	v_mul_f64_e32 v[46:47], s[24:25], v[122:123]
	v_add_f64_e32 v[24:25], v[48:49], v[24:25]
	v_mul_f64_e32 v[48:49], s[22:23], v[162:163]
	s_delay_alu instid0(VALU_DEP_4) | instskip(NEXT) | instid1(VALU_DEP_2)
	v_add_f64_e32 v[28:29], v[32:33], v[28:29]
	v_fma_f64 v[50:51], v[158:159], s[28:29], v[48:49]
	v_fma_f64 v[32:33], v[158:159], s[38:39], v[48:49]
	;; [unrolled: 1-line block ×4, first 2 shown]
	s_delay_alu instid0(VALU_DEP_4) | instskip(SKIP_4) | instid1(VALU_DEP_4)
	v_add_f64_e32 v[26:27], v[50:51], v[26:27]
	v_mul_f64_e32 v[50:51], s[26:27], v[16:17]
	v_add_f64_e32 v[30:31], v[32:33], v[30:31]
	v_add_f64_e32 v[48:49], v[48:49], v[132:133]
	;; [unrolled: 1-line block ×3, first 2 shown]
	v_fma_f64 v[140:141], v[12:13], s[20:21], v[50:51]
	v_fma_f64 v[32:33], v[12:13], s[20:21], -v[50:51]
	v_mul_f64_e32 v[50:51], s[38:39], v[144:145]
	s_delay_alu instid0(VALU_DEP_3) | instskip(SKIP_1) | instid1(VALU_DEP_4)
	v_add_f64_e32 v[24:25], v[140:141], v[24:25]
	v_mul_f64_e32 v[140:141], s[20:21], v[18:19]
	v_add_f64_e32 v[28:29], v[32:33], v[28:29]
	s_delay_alu instid0(VALU_DEP_4) | instskip(NEXT) | instid1(VALU_DEP_3)
	v_fma_f64 v[132:133], v[128:129], s[22:23], v[50:51]
	v_fma_f64 v[142:143], v[14:15], s[44:45], v[140:141]
	;; [unrolled: 1-line block ×3, first 2 shown]
	v_mul_f64_e32 v[140:141], s[12:13], v[162:163]
	s_delay_alu instid0(VALU_DEP_3) | instskip(SKIP_1) | instid1(VALU_DEP_4)
	v_add_f64_e32 v[26:27], v[142:143], v[26:27]
	v_mul_f64_e32 v[142:143], s[14:15], v[36:37]
	v_add_f64_e32 v[30:31], v[32:33], v[30:31]
	s_delay_alu instid0(VALU_DEP_2) | instskip(SKIP_2) | instid1(VALU_DEP_3)
	v_fma_f64 v[148:149], v[38:39], s[24:25], v[142:143]
	v_fma_f64 v[32:33], v[38:39], s[24:25], -v[142:143]
	v_mul_f64_e32 v[142:143], s[46:47], v[16:17]
	v_add_f64_e32 v[24:25], v[148:149], v[24:25]
	v_mul_f64_e32 v[148:149], s[24:25], v[42:43]
	s_delay_alu instid0(VALU_DEP_4) | instskip(SKIP_1) | instid1(VALU_DEP_3)
	v_add_f64_e32 v[28:29], v[32:33], v[28:29]
	v_mul_f64_e32 v[32:33], s[40:41], v[120:121]
	v_fma_f64 v[40:41], v[44:45], s[14:15], v[148:149]
	v_fma_f64 v[150:151], v[44:45], s[40:41], v[148:149]
	v_mul_f64_e32 v[148:149], s[30:31], v[18:19]
	s_delay_alu instid0(VALU_DEP_3) | instskip(SKIP_1) | instid1(VALU_DEP_4)
	v_add_f64_e32 v[30:31], v[40:41], v[30:31]
	v_fma_f64 v[40:41], v[104:105], s[24:25], v[32:33]
	v_add_f64_e32 v[26:27], v[150:151], v[26:27]
	v_mul_f64_e32 v[150:151], s[44:45], v[36:37]
	v_fma_f64 v[32:33], v[104:105], s[24:25], -v[32:33]
	s_delay_alu instid0(VALU_DEP_4) | instskip(NEXT) | instid1(VALU_DEP_2)
	v_add_f64_e32 v[40:41], v[40:41], v[134:135]
	v_add_f64_e32 v[32:33], v[32:33], v[126:127]
	s_delay_alu instid0(VALU_DEP_2) | instskip(SKIP_1) | instid1(VALU_DEP_1)
	v_add_f64_e32 v[40:41], v[132:133], v[40:41]
	v_fma_f64 v[132:133], v[130:131], s[28:29], v[136:137]
	v_add_f64_e32 v[48:49], v[132:133], v[48:49]
	v_fma_f64 v[132:133], v[152:153], s[12:13], v[138:139]
	s_delay_alu instid0(VALU_DEP_1) | instskip(SKIP_1) | instid1(VALU_DEP_1)
	v_add_f64_e32 v[40:41], v[132:133], v[40:41]
	v_fma_f64 v[132:133], v[158:159], s[36:37], v[140:141]
	v_add_f64_e32 v[48:49], v[132:133], v[48:49]
	v_fma_f64 v[132:133], v[12:13], s[30:31], v[142:143]
	s_delay_alu instid0(VALU_DEP_1) | instskip(SKIP_1) | instid1(VALU_DEP_1)
	;; [unrolled: 5-line block ×3, first 2 shown]
	v_add_f64_e32 v[132:133], v[132:133], v[40:41]
	v_mul_f64_e32 v[40:41], s[20:21], v[42:43]
	v_fma_f64 v[134:135], v[44:45], s[26:27], v[40:41]
	v_fma_f64 v[40:41], v[44:45], s[44:45], v[40:41]
	s_delay_alu instid0(VALU_DEP_2) | instskip(SKIP_2) | instid1(VALU_DEP_2)
	v_add_f64_e32 v[134:135], v[134:135], v[48:49]
	v_fma_f64 v[48:49], v[128:129], s[22:23], -v[50:51]
	v_mul_f64_e32 v[50:51], s[26:27], v[144:145]
	v_add_f64_e32 v[32:33], v[48:49], v[32:33]
	v_fma_f64 v[48:49], v[130:131], s[38:39], v[136:137]
	v_mul_f64_e32 v[136:137], s[20:21], v[146:147]
	s_delay_alu instid0(VALU_DEP_2) | instskip(SKIP_2) | instid1(VALU_DEP_2)
	v_add_f64_e32 v[46:47], v[48:49], v[46:47]
	v_fma_f64 v[48:49], v[152:153], s[12:13], -v[138:139]
	v_mul_f64_e32 v[138:139], s[46:47], v[160:161]
	v_add_f64_e32 v[32:33], v[48:49], v[32:33]
	v_fma_f64 v[48:49], v[158:159], s[16:17], v[140:141]
	v_mul_f64_e32 v[140:141], s[30:31], v[162:163]
	;; [unrolled: 7-line block ×3, first 2 shown]
	s_delay_alu instid0(VALU_DEP_2) | instskip(SKIP_3) | instid1(VALU_DEP_4)
	v_add_f64_e32 v[46:47], v[48:49], v[46:47]
	v_fma_f64 v[48:49], v[38:39], s[20:21], -v[150:151]
	v_mul_f64_e32 v[150:151], s[2:3], v[36:37]
	v_mul_f64_e32 v[36:37], s[36:37], v[36:37]
	v_add_f64_e32 v[126:127], v[40:41], v[46:47]
	s_delay_alu instid0(VALU_DEP_4) | instskip(SKIP_2) | instid1(VALU_DEP_2)
	v_add_f64_e32 v[124:125], v[48:49], v[32:33]
	v_mul_f64_e32 v[32:33], s[36:37], v[120:121]
	v_mul_f64_e32 v[46:47], s[12:13], v[122:123]
	v_fma_f64 v[40:41], v[104:105], s[12:13], v[32:33]
	s_delay_alu instid0(VALU_DEP_2) | instskip(SKIP_2) | instid1(VALU_DEP_4)
	v_fma_f64 v[48:49], v[106:107], s[16:17], v[46:47]
	v_fma_f64 v[32:33], v[104:105], s[12:13], -v[32:33]
	v_fma_f64 v[46:47], v[106:107], s[36:37], v[46:47]
	v_add_f64_e32 v[40:41], v[40:41], v[118:119]
	s_delay_alu instid0(VALU_DEP_4) | instskip(SKIP_3) | instid1(VALU_DEP_3)
	v_add_f64_e32 v[48:49], v[48:49], v[116:117]
	v_fma_f64 v[116:117], v[128:129], s[20:21], v[50:51]
	v_add_f64_e32 v[32:33], v[32:33], v[114:115]
	v_add_f64_e32 v[46:47], v[46:47], v[112:113]
	;; [unrolled: 1-line block ×3, first 2 shown]
	v_fma_f64 v[116:117], v[130:131], s[44:45], v[136:137]
	s_delay_alu instid0(VALU_DEP_1) | instskip(SKIP_1) | instid1(VALU_DEP_1)
	v_add_f64_e32 v[48:49], v[116:117], v[48:49]
	v_fma_f64 v[116:117], v[152:153], s[30:31], v[138:139]
	v_add_f64_e32 v[40:41], v[116:117], v[40:41]
	v_fma_f64 v[116:117], v[158:159], s[34:35], v[140:141]
	s_delay_alu instid0(VALU_DEP_1) | instskip(SKIP_1) | instid1(VALU_DEP_1)
	v_add_f64_e32 v[48:49], v[116:117], v[48:49]
	v_fma_f64 v[116:117], v[12:13], s[22:23], v[142:143]
	v_add_f64_e32 v[40:41], v[116:117], v[40:41]
	;; [unrolled: 5-line block ×3, first 2 shown]
	v_mul_f64_e32 v[40:41], s[18:19], v[42:43]
	v_mul_f64_e32 v[42:43], s[12:13], v[42:43]
	s_delay_alu instid0(VALU_DEP_2) | instskip(SKIP_1) | instid1(VALU_DEP_2)
	v_fma_f64 v[118:119], v[44:45], s[42:43], v[40:41]
	v_fma_f64 v[40:41], v[44:45], s[2:3], v[40:41]
	v_add_f64_e32 v[118:119], v[118:119], v[48:49]
	v_fma_f64 v[48:49], v[128:129], s[20:21], -v[50:51]
	v_mul_f64_e32 v[50:51], s[14:15], v[144:145]
	s_delay_alu instid0(VALU_DEP_2) | instskip(SKIP_1) | instid1(VALU_DEP_1)
	v_add_f64_e32 v[32:33], v[48:49], v[32:33]
	v_fma_f64 v[48:49], v[130:131], s[26:27], v[136:137]
	v_add_f64_e32 v[46:47], v[48:49], v[46:47]
	v_fma_f64 v[48:49], v[152:153], s[30:31], -v[138:139]
	s_delay_alu instid0(VALU_DEP_1) | instskip(SKIP_1) | instid1(VALU_DEP_1)
	v_add_f64_e32 v[32:33], v[48:49], v[32:33]
	v_fma_f64 v[48:49], v[158:159], s[46:47], v[140:141]
	v_add_f64_e32 v[46:47], v[48:49], v[46:47]
	v_fma_f64 v[48:49], v[12:13], s[22:23], -v[142:143]
	s_delay_alu instid0(VALU_DEP_1) | instskip(SKIP_1) | instid1(VALU_DEP_1)
	v_add_f64_e32 v[32:33], v[48:49], v[32:33]
	v_fma_f64 v[48:49], v[14:15], s[38:39], v[148:149]
	v_add_f64_e32 v[46:47], v[48:49], v[46:47]
	v_fma_f64 v[48:49], v[38:39], s[18:19], -v[150:151]
	s_delay_alu instid0(VALU_DEP_2) | instskip(NEXT) | instid1(VALU_DEP_2)
	v_add_f64_e32 v[114:115], v[40:41], v[46:47]
	v_add_f64_e32 v[112:113], v[48:49], v[32:33]
	v_mul_f64_e32 v[32:33], s[38:39], v[120:121]
	v_mul_f64_e32 v[46:47], s[22:23], v[122:123]
	s_delay_alu instid0(VALU_DEP_2) | instskip(NEXT) | instid1(VALU_DEP_2)
	v_fma_f64 v[40:41], v[104:105], s[22:23], v[32:33]
	v_fma_f64 v[48:49], v[106:107], s[28:29], v[46:47]
	v_fma_f64 v[32:33], v[104:105], s[22:23], -v[32:33]
	v_fma_f64 v[46:47], v[106:107], s[38:39], v[46:47]
	s_delay_alu instid0(VALU_DEP_4) | instskip(NEXT) | instid1(VALU_DEP_4)
	v_add_f64_e32 v[40:41], v[40:41], v[110:111]
	v_add_f64_e32 v[48:49], v[48:49], v[108:109]
	v_fma_f64 v[108:109], v[128:129], s[24:25], v[50:51]
	v_add_f64_e32 v[32:33], v[32:33], v[100:101]
	v_add_f64_e32 v[46:47], v[46:47], v[102:103]
	s_delay_alu instid0(VALU_DEP_3) | instskip(SKIP_1) | instid1(VALU_DEP_1)
	v_add_f64_e32 v[40:41], v[108:109], v[40:41]
	v_mul_f64_e32 v[108:109], s[24:25], v[146:147]
	v_fma_f64 v[110:111], v[130:131], s[40:41], v[108:109]
	s_delay_alu instid0(VALU_DEP_1) | instskip(SKIP_1) | instid1(VALU_DEP_1)
	v_add_f64_e32 v[48:49], v[110:111], v[48:49]
	v_mul_f64_e32 v[110:111], s[44:45], v[160:161]
	v_fma_f64 v[120:121], v[152:153], s[20:21], v[110:111]
	v_fma_f64 v[100:101], v[152:153], s[20:21], -v[110:111]
	s_delay_alu instid0(VALU_DEP_2) | instskip(SKIP_1) | instid1(VALU_DEP_1)
	v_add_f64_e32 v[40:41], v[120:121], v[40:41]
	v_mul_f64_e32 v[120:121], s[20:21], v[162:163]
	v_fma_f64 v[122:123], v[158:159], s[26:27], v[120:121]
	v_fma_f64 v[102:103], v[158:159], s[44:45], v[120:121]
	s_delay_alu instid0(VALU_DEP_2) | instskip(SKIP_1) | instid1(VALU_DEP_1)
	v_add_f64_e32 v[48:49], v[122:123], v[48:49]
	v_mul_f64_e32 v[122:123], s[2:3], v[16:17]
	v_fma_f64 v[16:17], v[12:13], s[18:19], v[122:123]
	v_fma_f64 v[12:13], v[12:13], s[18:19], -v[122:123]
	s_delay_alu instid0(VALU_DEP_2) | instskip(SKIP_1) | instid1(VALU_DEP_1)
	v_add_f64_e32 v[16:17], v[16:17], v[40:41]
	v_mul_f64_e32 v[40:41], s[18:19], v[18:19]
	v_fma_f64 v[18:19], v[14:15], s[42:43], v[40:41]
	v_fma_f64 v[14:15], v[14:15], s[2:3], v[40:41]
	s_mul_u64 s[2:3], s[4:5], 0xa90
	s_delay_alu instid0(VALU_DEP_2) | instskip(SKIP_3) | instid1(VALU_DEP_3)
	v_add_f64_e32 v[18:19], v[18:19], v[48:49]
	v_fma_f64 v[48:49], v[38:39], s[12:13], v[36:37]
	v_fma_f64 v[36:37], v[38:39], s[12:13], -v[36:37]
	v_fma_f64 v[38:39], v[44:45], s[36:37], v[42:43]
	v_add_f64_e32 v[16:17], v[48:49], v[16:17]
	v_fma_f64 v[48:49], v[44:45], s[16:17], v[42:43]
	s_delay_alu instid0(VALU_DEP_1) | instskip(SKIP_2) | instid1(VALU_DEP_2)
	v_add_f64_e32 v[18:19], v[48:49], v[18:19]
	v_fma_f64 v[48:49], v[128:129], s[24:25], -v[50:51]
	v_fma_f64 v[50:51], v[130:131], s[14:15], v[108:109]
	v_add_f64_e32 v[32:33], v[48:49], v[32:33]
	s_delay_alu instid0(VALU_DEP_2) | instskip(NEXT) | instid1(VALU_DEP_2)
	v_add_f64_e32 v[46:47], v[50:51], v[46:47]
	v_add_f64_e32 v[32:33], v[100:101], v[32:33]
	s_delay_alu instid0(VALU_DEP_2) | instskip(NEXT) | instid1(VALU_DEP_2)
	v_add_f64_e32 v[40:41], v[102:103], v[46:47]
	v_add_f64_e32 v[12:13], v[12:13], v[32:33]
	;; [unrolled: 1-line block ×3, first 2 shown]
	s_delay_alu instid0(VALU_DEP_3) | instskip(NEXT) | instid1(VALU_DEP_3)
	v_add_f64_e32 v[14:15], v[14:15], v[40:41]
	v_add_f64_e32 v[12:13], v[36:37], v[12:13]
	;; [unrolled: 1-line block ×3, first 2 shown]
	s_delay_alu instid0(VALU_DEP_4) | instskip(NEXT) | instid1(VALU_DEP_4)
	v_add_f64_e32 v[32:33], v[32:33], v[56:57]
	v_add_f64_e32 v[14:15], v[38:39], v[14:15]
	s_delay_alu instid0(VALU_DEP_3) | instskip(NEXT) | instid1(VALU_DEP_3)
	v_add_f64_e32 v[36:37], v[36:37], v[58:59]
	v_add_f64_e32 v[32:33], v[32:33], v[60:61]
	s_delay_alu instid0(VALU_DEP_2) | instskip(NEXT) | instid1(VALU_DEP_2)
	v_add_f64_e32 v[36:37], v[36:37], v[62:63]
	v_add_f64_e32 v[32:33], v[32:33], v[64:65]
	s_delay_alu instid0(VALU_DEP_2) | instskip(NEXT) | instid1(VALU_DEP_2)
	;; [unrolled: 3-line block ×8, first 2 shown]
	v_add_f64_e32 v[36:37], v[36:37], v[90:91]
	v_add_f64_e32 v[52:53], v[32:33], v[94:95]
	s_delay_alu instid0(VALU_DEP_2)
	v_add_f64_e32 v[54:55], v[36:37], v[92:93]
	ds_store_b128 v35, v[4:7] offset:5408
	ds_store_b128 v35, v[24:27] offset:8112
	;; [unrolled: 1-line block ×12, first 2 shown]
	ds_store_b128 v35, v[52:55]
	global_wb scope:SCOPE_SE
	s_wait_dscnt 0x0
	s_barrier_signal -1
	s_barrier_wait -1
	global_inv scope:SCOPE_SE
	ds_load_b128 v[0:3], v35
	ds_load_b128 v[4:7], v35 offset:2704
	s_clause 0x1
	scratch_load_b128 v[10:13], off, off offset:136 th:TH_LOAD_LU
	scratch_load_b128 v[14:17], off, off offset:184 th:TH_LOAD_LU
	s_wait_loadcnt_dscnt 0x101
	v_mul_f64_e32 v[8:9], v[12:13], v[2:3]
	s_delay_alu instid0(VALU_DEP_1) | instskip(SKIP_1) | instid1(VALU_DEP_1)
	v_fma_f64 v[8:9], v[10:11], v[0:1], v[8:9]
	v_mul_f64_e32 v[0:1], v[12:13], v[0:1]
	v_fma_f64 v[10:11], v[10:11], v[2:3], -v[0:1]
	s_wait_loadcnt_dscnt 0x0
	v_mul_f64_e32 v[0:1], v[16:17], v[6:7]
	s_delay_alu instid0(VALU_DEP_1) | instskip(SKIP_1) | instid1(VALU_DEP_1)
	v_fma_f64 v[12:13], v[14:15], v[4:5], v[0:1]
	v_mul_f64_e32 v[0:1], v[16:17], v[4:5]
	v_fma_f64 v[14:15], v[14:15], v[6:7], -v[0:1]
	ds_load_b128 v[0:3], v35 offset:5408
	ds_load_b128 v[4:7], v35 offset:8112
	s_clause 0x1
	scratch_load_b128 v[18:21], off, off offset:8 th:TH_LOAD_LU
	scratch_load_b128 v[22:25], off, off offset:88 th:TH_LOAD_LU
	s_wait_loadcnt_dscnt 0x101
	v_mul_f64_e32 v[16:17], v[20:21], v[2:3]
	s_delay_alu instid0(VALU_DEP_1) | instskip(SKIP_1) | instid1(VALU_DEP_1)
	v_fma_f64 v[16:17], v[18:19], v[0:1], v[16:17]
	v_mul_f64_e32 v[0:1], v[20:21], v[0:1]
	v_fma_f64 v[18:19], v[18:19], v[2:3], -v[0:1]
	s_wait_loadcnt_dscnt 0x0
	v_mul_f64_e32 v[0:1], v[24:25], v[6:7]
	s_delay_alu instid0(VALU_DEP_1) | instskip(SKIP_1) | instid1(VALU_DEP_1)
	v_fma_f64 v[20:21], v[22:23], v[4:5], v[0:1]
	v_mul_f64_e32 v[0:1], v[24:25], v[4:5]
	v_fma_f64 v[22:23], v[22:23], v[6:7], -v[0:1]
	ds_load_b128 v[0:3], v35 offset:10816
	;; [unrolled: 17-line block ×5, first 2 shown]
	ds_load_b128 v[4:7], v35 offset:29744
	s_clause 0x2
	scratch_load_b128 v[52:55], off, off offset:152 th:TH_LOAD_LU
	scratch_load_b128 v[56:59], off, off offset:168 th:TH_LOAD_LU
	;; [unrolled: 1-line block ×3, first 2 shown]
	s_wait_loadcnt_dscnt 0x201
	v_mul_f64_e32 v[50:51], v[54:55], v[2:3]
	s_delay_alu instid0(VALU_DEP_1) | instskip(SKIP_1) | instid1(VALU_DEP_1)
	v_fma_f64 v[50:51], v[52:53], v[0:1], v[50:51]
	v_mul_f64_e32 v[0:1], v[54:55], v[0:1]
	v_fma_f64 v[52:53], v[52:53], v[2:3], -v[0:1]
	s_wait_loadcnt_dscnt 0x100
	v_mul_f64_e32 v[0:1], v[58:59], v[6:7]
	s_delay_alu instid0(VALU_DEP_1) | instskip(SKIP_1) | instid1(VALU_DEP_1)
	v_fma_f64 v[54:55], v[56:57], v[4:5], v[0:1]
	v_mul_f64_e32 v[0:1], v[58:59], v[4:5]
	v_fma_f64 v[56:57], v[56:57], v[6:7], -v[0:1]
	ds_load_b128 v[0:3], v35 offset:32448
	s_wait_loadcnt_dscnt 0x0
	v_mul_f64_e32 v[4:5], v[62:63], v[2:3]
	s_delay_alu instid0(VALU_DEP_1) | instskip(SKIP_1) | instid1(VALU_DEP_1)
	v_fma_f64 v[58:59], v[60:61], v[0:1], v[4:5]
	v_mul_f64_e32 v[0:1], v[62:63], v[0:1]
	v_fma_f64 v[60:61], v[60:61], v[2:3], -v[0:1]
	scratch_load_b64 v[2:3], off, off th:TH_LOAD_LU ; 8-byte Folded Reload
	s_wait_loadcnt 0x0
	v_mad_co_u64_u32 v[0:1], null, s6, v2, 0
	s_delay_alu instid0(VALU_DEP_1) | instskip(SKIP_1) | instid1(VALU_DEP_2)
	v_mad_co_u64_u32 v[1:2], null, s7, v2, v[1:2]
	v_mad_co_u64_u32 v[2:3], null, s4, v34, 0
	v_lshlrev_b64_e32 v[0:1], 4, v[0:1]
	s_delay_alu instid0(VALU_DEP_2) | instskip(NEXT) | instid1(VALU_DEP_2)
	v_mad_co_u64_u32 v[3:4], null, s5, v34, v[3:4]
	v_add_co_u32 v4, vcc_lo, s0, v0
	s_wait_alu 0xfffd
	s_delay_alu instid0(VALU_DEP_3) | instskip(NEXT) | instid1(VALU_DEP_3)
	v_add_co_ci_u32_e32 v5, vcc_lo, s1, v1, vcc_lo
	v_lshlrev_b64_e32 v[0:1], 4, v[2:3]
	s_mov_b32 s0, 0xaab49c24
	s_mov_b32 s1, 0x3f3dd46b
	s_wait_alu 0xfffe
	v_mul_f64_e32 v[2:3], s[0:1], v[10:11]
	v_mul_f64_e32 v[6:7], s[0:1], v[26:27]
	v_add_co_u32 v4, vcc_lo, v4, v0
	s_wait_alu 0xfffd
	v_add_co_ci_u32_e32 v5, vcc_lo, v5, v1, vcc_lo
	v_mul_f64_e32 v[0:1], s[0:1], v[8:9]
	v_mul_f64_e32 v[10:11], s[0:1], v[36:37]
	;; [unrolled: 1-line block ×4, first 2 shown]
	global_store_b128 v[4:5], v[0:3], off
	v_mul_f64_e32 v[0:1], s[0:1], v[12:13]
	v_mul_f64_e32 v[2:3], s[0:1], v[14:15]
	v_add_co_u32 v4, vcc_lo, v4, s2
	s_wait_alu 0xfffd
	v_add_co_ci_u32_e32 v5, vcc_lo, s3, v5, vcc_lo
	v_mul_f64_e32 v[12:13], s[0:1], v[38:39]
	s_delay_alu instid0(VALU_DEP_3) | instskip(SKIP_1) | instid1(VALU_DEP_3)
	v_add_co_u32 v8, vcc_lo, v4, s2
	s_wait_alu 0xfffd
	v_add_co_ci_u32_e32 v9, vcc_lo, s3, v5, vcc_lo
	v_mul_f64_e32 v[14:15], s[0:1], v[40:41]
	global_store_b128 v[4:5], v[0:3], off
	v_mul_f64_e32 v[0:1], s[0:1], v[16:17]
	v_mul_f64_e32 v[2:3], s[0:1], v[18:19]
	v_mul_f64_e32 v[4:5], s[0:1], v[24:25]
	v_mul_f64_e32 v[16:17], s[0:1], v[42:43]
	v_mul_f64_e32 v[18:19], s[0:1], v[44:45]
	v_mul_f64_e32 v[24:25], s[0:1], v[50:51]
	global_store_b128 v[8:9], v[0:3], off
	v_mul_f64_e32 v[0:1], s[0:1], v[20:21]
	v_mul_f64_e32 v[2:3], s[0:1], v[22:23]
	v_add_co_u32 v8, vcc_lo, v8, s2
	s_wait_alu 0xfffd
	v_add_co_ci_u32_e32 v9, vcc_lo, s3, v9, vcc_lo
	v_mul_f64_e32 v[20:21], s[0:1], v[46:47]
	s_delay_alu instid0(VALU_DEP_3) | instskip(SKIP_1) | instid1(VALU_DEP_3)
	v_add_co_u32 v62, vcc_lo, v8, s2
	s_wait_alu 0xfffd
	v_add_co_ci_u32_e32 v63, vcc_lo, s3, v9, vcc_lo
	v_mul_f64_e32 v[22:23], s[0:1], v[48:49]
	s_delay_alu instid0(VALU_DEP_3) | instskip(SKIP_1) | instid1(VALU_DEP_3)
	v_add_co_u32 v64, vcc_lo, v62, s2
	s_wait_alu 0xfffd
	v_add_co_ci_u32_e32 v65, vcc_lo, s3, v63, vcc_lo
	s_delay_alu instid0(VALU_DEP_2) | instskip(SKIP_1) | instid1(VALU_DEP_2)
	v_add_co_u32 v36, vcc_lo, v64, s2
	s_wait_alu 0xfffd
	v_add_co_ci_u32_e32 v37, vcc_lo, s3, v65, vcc_lo
	s_delay_alu instid0(VALU_DEP_2) | instskip(SKIP_1) | instid1(VALU_DEP_2)
	v_add_co_u32 v38, vcc_lo, v36, s2
	s_wait_alu 0xfffd
	v_add_co_ci_u32_e32 v39, vcc_lo, s3, v37, vcc_lo
	global_store_b128 v[8:9], v[0:3], off
	v_mul_f64_e32 v[0:1], s[0:1], v[28:29]
	v_mul_f64_e32 v[2:3], s[0:1], v[30:31]
	;; [unrolled: 1-line block ×6, first 2 shown]
	global_store_b128 v[62:63], v[4:7], off
	v_add_co_u32 v4, vcc_lo, v38, s2
	s_wait_alu 0xfffd
	v_add_co_ci_u32_e32 v5, vcc_lo, s3, v39, vcc_lo
	s_delay_alu instid0(VALU_DEP_2) | instskip(SKIP_1) | instid1(VALU_DEP_2)
	v_add_co_u32 v6, vcc_lo, v4, s2
	s_wait_alu 0xfffd
	v_add_co_ci_u32_e32 v7, vcc_lo, s3, v5, vcc_lo
	s_delay_alu instid0(VALU_DEP_2) | instskip(SKIP_1) | instid1(VALU_DEP_2)
	v_add_co_u32 v40, vcc_lo, v6, s2
	s_wait_alu 0xfffd
	v_add_co_ci_u32_e32 v41, vcc_lo, s3, v7, vcc_lo
	global_store_b128 v[64:65], v[0:3], off
	v_add_co_u32 v0, vcc_lo, v40, s2
	s_wait_alu 0xfffd
	v_add_co_ci_u32_e32 v1, vcc_lo, s3, v41, vcc_lo
	s_delay_alu instid0(VALU_DEP_2) | instskip(SKIP_1) | instid1(VALU_DEP_2)
	v_add_co_u32 v2, vcc_lo, v0, s2
	s_wait_alu 0xfffd
	v_add_co_ci_u32_e32 v3, vcc_lo, s3, v1, vcc_lo
	global_store_b128 v[36:37], v[8:11], off
	global_store_b128 v[38:39], v[12:15], off
	global_store_b128 v[4:5], v[16:19], off
	global_store_b128 v[6:7], v[20:23], off
	global_store_b128 v[40:41], v[24:27], off
	global_store_b128 v[0:1], v[28:31], off
	global_store_b128 v[2:3], v[32:35], off
.LBB0_2:
	s_nop 0
	s_sendmsg sendmsg(MSG_DEALLOC_VGPRS)
	s_endpgm
	.section	.rodata,"a",@progbits
	.p2align	6, 0x0
	.amdhsa_kernel bluestein_single_back_len2197_dim1_dp_op_CI_CI
		.amdhsa_group_segment_fixed_size 35152
		.amdhsa_private_segment_fixed_size 228
		.amdhsa_kernarg_size 104
		.amdhsa_user_sgpr_count 2
		.amdhsa_user_sgpr_dispatch_ptr 0
		.amdhsa_user_sgpr_queue_ptr 0
		.amdhsa_user_sgpr_kernarg_segment_ptr 1
		.amdhsa_user_sgpr_dispatch_id 0
		.amdhsa_user_sgpr_private_segment_size 0
		.amdhsa_wavefront_size32 1
		.amdhsa_uses_dynamic_stack 0
		.amdhsa_enable_private_segment 1
		.amdhsa_system_sgpr_workgroup_id_x 1
		.amdhsa_system_sgpr_workgroup_id_y 0
		.amdhsa_system_sgpr_workgroup_id_z 0
		.amdhsa_system_sgpr_workgroup_info 0
		.amdhsa_system_vgpr_workitem_id 0
		.amdhsa_next_free_vgpr 256
		.amdhsa_next_free_sgpr 48
		.amdhsa_reserve_vcc 1
		.amdhsa_float_round_mode_32 0
		.amdhsa_float_round_mode_16_64 0
		.amdhsa_float_denorm_mode_32 3
		.amdhsa_float_denorm_mode_16_64 3
		.amdhsa_fp16_overflow 0
		.amdhsa_workgroup_processor_mode 1
		.amdhsa_memory_ordered 1
		.amdhsa_forward_progress 0
		.amdhsa_round_robin_scheduling 0
		.amdhsa_exception_fp_ieee_invalid_op 0
		.amdhsa_exception_fp_denorm_src 0
		.amdhsa_exception_fp_ieee_div_zero 0
		.amdhsa_exception_fp_ieee_overflow 0
		.amdhsa_exception_fp_ieee_underflow 0
		.amdhsa_exception_fp_ieee_inexact 0
		.amdhsa_exception_int_div_zero 0
	.end_amdhsa_kernel
	.text
.Lfunc_end0:
	.size	bluestein_single_back_len2197_dim1_dp_op_CI_CI, .Lfunc_end0-bluestein_single_back_len2197_dim1_dp_op_CI_CI
                                        ; -- End function
	.section	.AMDGPU.csdata,"",@progbits
; Kernel info:
; codeLenInByte = 23168
; NumSgprs: 50
; NumVgprs: 256
; ScratchSize: 228
; MemoryBound: 0
; FloatMode: 240
; IeeeMode: 1
; LDSByteSize: 35152 bytes/workgroup (compile time only)
; SGPRBlocks: 6
; VGPRBlocks: 31
; NumSGPRsForWavesPerEU: 50
; NumVGPRsForWavesPerEU: 256
; Occupancy: 5
; WaveLimiterHint : 1
; COMPUTE_PGM_RSRC2:SCRATCH_EN: 1
; COMPUTE_PGM_RSRC2:USER_SGPR: 2
; COMPUTE_PGM_RSRC2:TRAP_HANDLER: 0
; COMPUTE_PGM_RSRC2:TGID_X_EN: 1
; COMPUTE_PGM_RSRC2:TGID_Y_EN: 0
; COMPUTE_PGM_RSRC2:TGID_Z_EN: 0
; COMPUTE_PGM_RSRC2:TIDIG_COMP_CNT: 0
	.text
	.p2alignl 7, 3214868480
	.fill 96, 4, 3214868480
	.type	__hip_cuid_dcdee0c5ca5cbb10,@object ; @__hip_cuid_dcdee0c5ca5cbb10
	.section	.bss,"aw",@nobits
	.globl	__hip_cuid_dcdee0c5ca5cbb10
__hip_cuid_dcdee0c5ca5cbb10:
	.byte	0                               ; 0x0
	.size	__hip_cuid_dcdee0c5ca5cbb10, 1

	.ident	"AMD clang version 19.0.0git (https://github.com/RadeonOpenCompute/llvm-project roc-6.4.0 25133 c7fe45cf4b819c5991fe208aaa96edf142730f1d)"
	.section	".note.GNU-stack","",@progbits
	.addrsig
	.addrsig_sym __hip_cuid_dcdee0c5ca5cbb10
	.amdgpu_metadata
---
amdhsa.kernels:
  - .args:
      - .actual_access:  read_only
        .address_space:  global
        .offset:         0
        .size:           8
        .value_kind:     global_buffer
      - .actual_access:  read_only
        .address_space:  global
        .offset:         8
        .size:           8
        .value_kind:     global_buffer
      - .actual_access:  read_only
        .address_space:  global
        .offset:         16
        .size:           8
        .value_kind:     global_buffer
      - .actual_access:  read_only
        .address_space:  global
        .offset:         24
        .size:           8
        .value_kind:     global_buffer
      - .actual_access:  read_only
        .address_space:  global
        .offset:         32
        .size:           8
        .value_kind:     global_buffer
      - .offset:         40
        .size:           8
        .value_kind:     by_value
      - .address_space:  global
        .offset:         48
        .size:           8
        .value_kind:     global_buffer
      - .address_space:  global
        .offset:         56
        .size:           8
        .value_kind:     global_buffer
      - .address_space:  global
        .offset:         64
        .size:           8
        .value_kind:     global_buffer
      - .address_space:  global
        .offset:         72
        .size:           8
        .value_kind:     global_buffer
      - .offset:         80
        .size:           4
        .value_kind:     by_value
      - .address_space:  global
        .offset:         88
        .size:           8
        .value_kind:     global_buffer
      - .address_space:  global
        .offset:         96
        .size:           8
        .value_kind:     global_buffer
    .group_segment_fixed_size: 35152
    .kernarg_segment_align: 8
    .kernarg_segment_size: 104
    .language:       OpenCL C
    .language_version:
      - 2
      - 0
    .max_flat_workgroup_size: 169
    .name:           bluestein_single_back_len2197_dim1_dp_op_CI_CI
    .private_segment_fixed_size: 228
    .sgpr_count:     50
    .sgpr_spill_count: 0
    .symbol:         bluestein_single_back_len2197_dim1_dp_op_CI_CI.kd
    .uniform_work_group_size: 1
    .uses_dynamic_stack: false
    .vgpr_count:     256
    .vgpr_spill_count: 56
    .wavefront_size: 32
    .workgroup_processor_mode: 1
amdhsa.target:   amdgcn-amd-amdhsa--gfx1201
amdhsa.version:
  - 1
  - 2
...

	.end_amdgpu_metadata
